;; amdgpu-corpus repo=ROCm/rocBLAS kind=compiled arch=gfx950 opt=O3
	.amdgcn_target "amdgcn-amd-amdhsa--gfx950"
	.amdhsa_code_object_version 6
	.section	.text._ZL19rocblas_tpsv_kernelILb1ELi512EPKfPfEv18rocblas_operation_bbiT1_llT2_lll,"axG",@progbits,_ZL19rocblas_tpsv_kernelILb1ELi512EPKfPfEv18rocblas_operation_bbiT1_llT2_lll,comdat
	.globl	_ZL19rocblas_tpsv_kernelILb1ELi512EPKfPfEv18rocblas_operation_bbiT1_llT2_lll ; -- Begin function _ZL19rocblas_tpsv_kernelILb1ELi512EPKfPfEv18rocblas_operation_bbiT1_llT2_lll
	.p2align	8
	.type	_ZL19rocblas_tpsv_kernelILb1ELi512EPKfPfEv18rocblas_operation_bbiT1_llT2_lll,@function
_ZL19rocblas_tpsv_kernelILb1ELi512EPKfPfEv18rocblas_operation_bbiT1_llT2_lll: ; @_ZL19rocblas_tpsv_kernelILb1ELi512EPKfPfEv18rocblas_operation_bbiT1_llT2_lll
; %bb.0:
	s_load_dwordx2 s[28:29], s[0:1], 0x0
	s_load_dwordx2 s[14:15], s[0:1], 0x4
	;; [unrolled: 1-line block ×3, first 2 shown]
	s_load_dwordx4 s[24:27], s[0:1], 0x18
	s_load_dwordx2 s[12:13], s[0:1], 0x28
	s_waitcnt lgkmcnt(0)
	s_bitcmp1_b32 s29, 0
	s_cselect_b64 s[4:5], -1, 0
	s_xor_b64 s[22:23], s[4:5], -1
	s_bitcmp1_b32 s14, 8
	s_load_dwordx4 s[4:7], s[0:1], 0x30
	s_load_dwordx2 s[16:17], s[0:1], 0x40
	s_mul_i32 s0, s27, s2
	s_mul_hi_u32 s1, s26, s2
	s_cselect_b64 s[8:9], -1, 0
	s_add_i32 s1, s1, s0
	s_mul_i32 s0, s26, s2
	s_lshl_b64 s[20:21], s[0:1], 2
	s_add_u32 s0, s18, s20
	s_addc_u32 s1, s19, s21
	s_lshl_b64 s[24:25], s[24:25], 2
	s_add_u32 s10, s0, s24
	s_addc_u32 s11, s1, s25
	s_waitcnt lgkmcnt(0)
	s_mul_i32 s0, s17, s2
	s_mul_hi_u32 s1, s16, s2
	s_add_i32 s1, s1, s0
	s_mul_i32 s0, s16, s2
	s_lshl_b64 s[0:1], s[0:1], 2
	s_add_u32 s2, s12, s0
	s_addc_u32 s3, s13, s1
	s_lshl_b64 s[0:1], s[4:5], 2
	s_add_u32 s12, s2, s0
	s_addc_u32 s13, s3, s1
	s_cmp_gt_i32 s15, 0
	s_cselect_b64 s[16:17], -1, 0
	s_cmpk_lg_i32 s28, 0x6f
	s_mov_b64 s[0:1], -1
	s_cbranch_scc0 .LBB0_93
; %bb.1:
	s_and_b64 vcc, exec, s[22:23]
	s_cbranch_vccz .LBB0_44
; %bb.2:
	s_andn2_b64 vcc, exec, s[16:17]
	s_cbranch_vccnz .LBB0_43
; %bb.3:
	s_lshl_b32 s4, s15, 1
	s_add_i32 s38, s15, 0xfffffe00
	s_or_b32 s14, s4, 1
	s_add_u32 s2, s20, s24
	v_lshlrev_b32_e32 v2, 2, v0
	s_addc_u32 s3, s21, s25
	v_or_b32_e32 v1, 0x1800, v2
	v_mov_b32_e32 v3, s3
	v_sub_co_u32_e32 v2, vcc, s2, v2
	s_mov_b64 s[0:1], 0x7f8
	s_nop 0
	v_subbrev_co_u32_e32 v3, vcc, 0, v3, vcc
	v_lshl_add_u64 v[2:3], s[18:19], 0, v[2:3]
	v_lshl_add_u64 v[2:3], v[2:3], 0, s[0:1]
	s_ashr_i32 s1, s15, 31
	s_mov_b32 s0, s15
	s_lshl_b64 s[0:1], s[0:1], 2
	s_add_u32 s0, s2, s0
	s_addc_u32 s1, s3, s1
	s_add_u32 s0, s18, s0
	v_sub_u32_e32 v4, s15, v0
	s_addc_u32 s1, s19, s1
	v_add_u32_e32 v10, 0x201, v4
	v_add_u32_e32 v4, s15, v0
	s_add_u32 s2, s0, 0xfffff800
	v_add_u32_e32 v11, 0xfffffe00, v4
	v_add_u32_e32 v12, 0xfffffe01, v0
	s_addc_u32 s3, s1, -1
	v_add_u32_e32 v13, 0xfffffc00, v4
	s_ashr_i32 s33, s4, 31
	s_movk_i32 s42, 0x400
	s_movk_i32 s43, 0x401
	;; [unrolled: 1-line block ×4, first 2 shown]
	s_mov_b64 s[4:5], 0x800
	s_mov_b64 s[26:27], 0x200
	s_xor_b64 s[28:29], s[8:9], -1
	s_branch .LBB0_5
.LBB0_4:                                ;   in Loop: Header=BB0_5 Depth=1
	s_or_b64 exec, exec, s[34:35]
	s_add_u32 s2, s2, 0xfffff800
	v_add_u32_e32 v10, 0x200, v10
	v_add_u32_e32 v11, 0xfffffe00, v11
	s_addc_u32 s3, s3, -1
	v_add_u32_e32 v13, 0xfffffe00, v13
	s_andn2_b64 vcc, exec, s[30:31]
	s_mov_b32 s38, s46
	s_barrier
	s_cbranch_vccz .LBB0_43
.LBB0_5:                                ; =>This Loop Header: Depth=1
                                        ;     Child Loop BB0_9 Depth 2
                                        ;     Child Loop BB0_21 Depth 2
                                        ;       Child Loop BB0_24 Depth 3
	v_add_u32_e32 v14, s38, v0
	v_cmp_gt_i32_e32 vcc, 0, v14
	v_cmp_lt_i32_e64 s[0:1], -1, v14
	s_and_saveexec_b64 s[30:31], s[0:1]
	s_cbranch_execz .LBB0_7
; %bb.6:                                ;   in Loop: Header=BB0_5 Depth=1
	v_mad_u64_u32 v[4:5], s[34:35], s6, v14, 0
	v_mov_b32_e32 v6, v5
	v_mad_u64_u32 v[6:7], s[34:35], s7, v14, v[6:7]
	v_mov_b32_e32 v5, v6
	v_lshl_add_u64 v[4:5], v[4:5], 2, s[12:13]
	global_load_dword v4, v[4:5], off
	s_waitcnt vmcnt(0)
	ds_write_b32 v1, v4
.LBB0_7:                                ;   in Loop: Header=BB0_5 Depth=1
	s_or_b64 exec, exec, s[30:31]
	v_mad_u64_u32 v[4:5], s[30:31], v10, v11, 0
	v_ashrrev_i32_e32 v7, 31, v10
	v_mov_b32_e32 v6, v5
	v_mad_u64_u32 v[6:7], s[30:31], v7, v11, v[6:7]
	v_mov_b32_e32 v5, v6
	s_not_b32 s30, s38
	v_sub_u32_e32 v6, s14, v14
	v_max_i32_e32 v8, s30, v0
	v_ashrrev_i32_e32 v9, 31, v6
	v_mad_u64_u32 v[6:7], s[30:31], v6, v14, 0
	v_mov_b32_e32 v16, v7
	v_mad_u64_u32 v[16:17], s[30:31], v9, v14, v[16:17]
	v_mov_b32_e32 v7, v16
	v_lshlrev_b64 v[4:5], 1, v[4:5]
	v_lshlrev_b64 v[6:7], 1, v[6:7]
	v_and_b32_e32 v4, -4, v4
	v_and_b32_e32 v6, -4, v6
	s_or_b64 s[30:31], vcc, s[8:9]
	v_lshl_add_u64 v[4:5], v[2:3], 0, v[4:5]
	v_lshl_add_u64 v[6:7], s[10:11], 0, v[6:7]
	s_movk_i32 s39, 0x1ff
	s_movk_i32 s40, 0x1ff8
	s_xor_b64 s[30:31], s[30:31], -1
	s_xor_b64 s[34:35], vcc, -1
	v_mov_b32_e32 v9, v12
	s_waitcnt lgkmcnt(0)
	s_barrier
	s_branch .LBB0_9
.LBB0_8:                                ;   in Loop: Header=BB0_9 Depth=2
	s_or_b64 exec, exec, s[36:37]
	s_add_i32 s39, s39, -2
	s_add_i32 s40, s40, -8
	v_lshl_add_u64 v[4:5], v[4:5], 0, -8
	s_cmp_eq_u32 s41, 0
	v_add_u32_e32 v9, 2, v9
	s_cbranch_scc1 .LBB0_17
.LBB0_9:                                ;   Parent Loop BB0_5 Depth=1
                                        ; =>  This Inner Loop Header: Depth=2
	v_cmp_eq_u32_e32 vcc, 0, v9
	s_and_b64 s[46:47], vcc, s[30:31]
	s_and_saveexec_b64 s[36:37], s[46:47]
	s_cbranch_execz .LBB0_11
; %bb.10:                               ;   in Loop: Header=BB0_9 Depth=2
	global_load_dword v15, v[6:7], off
	ds_read_b32 v16, v1
	s_waitcnt vmcnt(0) lgkmcnt(0)
	v_div_scale_f32 v17, s[46:47], v15, v15, v16
	v_rcp_f32_e32 v18, v17
	v_div_scale_f32 v19, vcc, v16, v15, v16
	v_fma_f32 v20, -v17, v18, 1.0
	v_fmac_f32_e32 v18, v20, v18
	v_mul_f32_e32 v20, v19, v18
	v_fma_f32 v21, -v17, v20, v19
	v_fmac_f32_e32 v20, v21, v18
	v_fma_f32 v17, -v17, v20, v19
	v_div_fmas_f32 v17, v17, v18, v20
	v_div_fixup_f32 v15, v17, v15, v16
	ds_write_b32 v1, v15
.LBB0_11:                               ;   in Loop: Header=BB0_9 Depth=2
	s_or_b64 exec, exec, s[36:37]
	v_cmp_gt_u32_e32 vcc, s39, v8
	s_and_b64 s[46:47], s[34:35], vcc
	s_waitcnt lgkmcnt(0)
	s_barrier
	s_and_saveexec_b64 s[36:37], s[46:47]
	s_cbranch_execz .LBB0_13
; %bb.12:                               ;   in Loop: Header=BB0_9 Depth=2
	global_load_dword v15, v[4:5], off offset:4
	v_mov_b32_e32 v16, s40
	ds_read_b32 v16, v16 offset:4
	ds_read_b32 v17, v1
	s_waitcnt vmcnt(0) lgkmcnt(0)
	v_fma_f32 v15, -v15, v16, v17
	ds_write_b32 v1, v15
.LBB0_13:                               ;   in Loop: Header=BB0_9 Depth=2
	s_or_b64 exec, exec, s[36:37]
	s_add_i32 s41, s39, -1
	v_cmp_eq_u32_e32 vcc, s41, v0
	s_and_b64 s[46:47], vcc, s[30:31]
	s_and_saveexec_b64 s[36:37], s[46:47]
	s_cbranch_execz .LBB0_15
; %bb.14:                               ;   in Loop: Header=BB0_9 Depth=2
	global_load_dword v15, v[6:7], off
	ds_read_b32 v16, v1
	s_waitcnt vmcnt(0) lgkmcnt(0)
	v_div_scale_f32 v17, s[46:47], v15, v15, v16
	v_rcp_f32_e32 v18, v17
	v_div_scale_f32 v19, vcc, v16, v15, v16
	v_fma_f32 v20, -v17, v18, 1.0
	v_fmac_f32_e32 v18, v20, v18
	v_mul_f32_e32 v20, v19, v18
	v_fma_f32 v21, -v17, v20, v19
	v_fmac_f32_e32 v20, v21, v18
	v_fma_f32 v17, -v17, v20, v19
	v_div_fmas_f32 v17, v17, v18, v20
	v_div_fixup_f32 v15, v17, v15, v16
	ds_write_b32 v1, v15
.LBB0_15:                               ;   in Loop: Header=BB0_9 Depth=2
	s_or_b64 exec, exec, s[36:37]
	v_cmp_gt_u32_e32 vcc, s41, v8
	s_and_b64 s[46:47], s[34:35], vcc
	s_waitcnt lgkmcnt(0)
	s_barrier
	s_and_saveexec_b64 s[36:37], s[46:47]
	s_cbranch_execz .LBB0_8
; %bb.16:                               ;   in Loop: Header=BB0_9 Depth=2
	global_load_dword v15, v[4:5], off
	v_mov_b32_e32 v16, s40
	ds_read_b32 v16, v16
	ds_read_b32 v17, v1
	s_waitcnt vmcnt(0) lgkmcnt(0)
	v_fma_f32 v15, -v15, v16, v17
	ds_write_b32 v1, v15
	s_branch .LBB0_8
.LBB0_17:                               ;   in Loop: Header=BB0_5 Depth=1
	s_add_i32 s46, s38, 0xfffffe00
	s_cmp_lt_i32 s38, 1
	s_cselect_b64 s[30:31], -1, 0
	s_and_b64 vcc, exec, s[30:31]
	s_waitcnt lgkmcnt(0)
	s_barrier
	s_cbranch_vccnz .LBB0_41
; %bb.18:                               ;   in Loop: Header=BB0_5 Depth=1
	v_ashrrev_i32_e32 v7, 31, v13
	v_mad_i64_i32 v[4:5], s[34:35], v13, -4, s[2:3]
	v_mov_b32_e32 v8, s33
	v_sub_co_u32_e32 v6, vcc, s14, v13
	s_mov_b64 s[34:35], 0
	s_nop 0
	v_subb_co_u32_e32 v7, vcc, v8, v7, vcc
	v_mov_b32_e32 v15, v13
	v_mov_b32_e32 v16, v0
	s_mov_b32 s47, s46
                                        ; implicit-def: $sgpr36_sgpr37
	s_branch .LBB0_21
.LBB0_19:                               ;   in Loop: Header=BB0_21 Depth=2
	v_mad_u64_u32 v[8:9], s[40:41], s6, v17, 0
	v_mov_b32_e32 v20, v9
	v_mad_u64_u32 v[20:21], s[40:41], s7, v17, v[20:21]
	v_mov_b32_e32 v9, v20
	v_lshl_add_u64 v[8:9], v[8:9], 2, s[12:13]
	global_load_dword v17, v[8:9], off
	s_add_i32 s48, s47, 0xfffffe00
	s_cmp_lt_i32 s47, 1
	s_cselect_b64 s[40:41], -1, 0
	s_andn2_b64 s[36:37], s[36:37], exec
	s_and_b64 s[40:41], s[40:41], exec
	v_add_u32_e32 v16, 0xfffffe00, v16
	v_lshl_add_u64 v[4:5], v[4:5], 0, s[4:5]
	v_lshl_add_u64 v[6:7], v[6:7], 0, s[26:27]
	v_add_u32_e32 v15, 0xfffffe00, v15
	s_or_b64 s[36:37], s[36:37], s[40:41]
	s_mov_b32 s47, s48
	s_waitcnt vmcnt(0)
	v_sub_f32_e32 v17, v17, v18
	global_store_dword v[8:9], v17, off
.LBB0_20:                               ;   in Loop: Header=BB0_21 Depth=2
	s_or_b64 exec, exec, s[38:39]
	s_and_b64 s[38:39], exec, s[36:37]
	s_or_b64 s[34:35], s[38:39], s[34:35]
	s_andn2_b64 exec, exec, s[34:35]
	s_cbranch_execz .LBB0_40
.LBB0_21:                               ;   Parent Loop BB0_5 Depth=1
                                        ; =>  This Loop Header: Depth=2
                                        ;       Child Loop BB0_24 Depth 3
	v_add_u32_e32 v17, s47, v0
	v_cmp_lt_i32_e32 vcc, -1, v17
	s_or_b64 s[36:37], s[36:37], exec
	s_and_saveexec_b64 s[38:39], vcc
	s_cbranch_execz .LBB0_20
; %bb.22:                               ;   in Loop: Header=BB0_21 Depth=2
	v_mad_u64_u32 v[8:9], s[40:41], v6, v15, 0
	v_mov_b32_e32 v18, v9
	v_mad_u64_u32 v[18:19], s[40:41], v7, v15, v[18:19]
	v_mov_b32_e32 v9, v18
	v_lshlrev_b64 v[8:9], 1, v[8:9]
	v_and_b32_e32 v8, -4, v8
	v_lshl_add_u64 v[8:9], v[4:5], 0, v[8:9]
	v_mov_b32_e32 v18, 0
	s_movk_i32 s48, 0x1800
	s_movk_i32 s49, 0x200
	s_branch .LBB0_24
.LBB0_23:                               ;   in Loop: Header=BB0_24 Depth=3
	s_or_b64 exec, exec, s[40:41]
	s_waitcnt lgkmcnt(0)
	v_add_f32_e32 v18, v18, v19
	v_add_f32_e32 v18, v18, v21
	;; [unrolled: 1-line block ×3, first 2 shown]
	s_add_i32 s48, s48, 16
	s_add_i32 s49, s49, -4
	v_add_f32_e32 v18, v18, v20
	s_cmp_eq_u32 s49, 0
	v_lshl_add_u64 v[8:9], v[8:9], 0, 16
	s_cbranch_scc1 .LBB0_19
.LBB0_24:                               ;   Parent Loop BB0_5 Depth=1
                                        ;     Parent Loop BB0_21 Depth=2
                                        ; =>    This Inner Loop Header: Depth=3
	v_add_u32_e32 v20, s49, v16
	v_cmp_ne_u32_e32 vcc, s42, v20
	s_or_b64 s[40:41], s[28:29], vcc
                                        ; implicit-def: $vgpr19
	s_and_saveexec_b64 s[50:51], s[40:41]
	s_xor_b64 s[40:41], exec, s[50:51]
	s_cbranch_execz .LBB0_26
; %bb.25:                               ;   in Loop: Header=BB0_24 Depth=3
	global_load_dword v19, v[8:9], off
	v_mov_b32_e32 v21, s48
	ds_read_b32 v21, v21
	s_waitcnt vmcnt(0) lgkmcnt(0)
	v_mul_f32_e32 v19, v19, v21
.LBB0_26:                               ;   in Loop: Header=BB0_24 Depth=3
	s_andn2_saveexec_b64 s[40:41], s[40:41]
; %bb.27:                               ;   in Loop: Header=BB0_24 Depth=3
	v_mov_b32_e32 v19, s48
	ds_read_b32 v19, v19
; %bb.28:                               ;   in Loop: Header=BB0_24 Depth=3
	s_or_b64 exec, exec, s[40:41]
	v_cmp_ne_u32_e32 vcc, s43, v20
	s_or_b64 s[40:41], s[28:29], vcc
                                        ; implicit-def: $vgpr21
	s_and_saveexec_b64 s[50:51], s[40:41]
	s_xor_b64 s[40:41], exec, s[50:51]
	s_cbranch_execz .LBB0_30
; %bb.29:                               ;   in Loop: Header=BB0_24 Depth=3
	global_load_dword v21, v[8:9], off offset:4
	v_mov_b32_e32 v22, s48
	ds_read_b32 v22, v22 offset:4
	s_waitcnt vmcnt(0) lgkmcnt(0)
	v_mul_f32_e32 v21, v21, v22
.LBB0_30:                               ;   in Loop: Header=BB0_24 Depth=3
	s_andn2_saveexec_b64 s[40:41], s[40:41]
; %bb.31:                               ;   in Loop: Header=BB0_24 Depth=3
	v_mov_b32_e32 v21, s48
	ds_read_b32 v21, v21 offset:4
; %bb.32:                               ;   in Loop: Header=BB0_24 Depth=3
	s_or_b64 exec, exec, s[40:41]
	v_cmp_ne_u32_e32 vcc, s44, v20
	s_or_b64 s[40:41], s[28:29], vcc
                                        ; implicit-def: $vgpr22
	s_and_saveexec_b64 s[50:51], s[40:41]
	s_xor_b64 s[40:41], exec, s[50:51]
	s_cbranch_execz .LBB0_34
; %bb.33:                               ;   in Loop: Header=BB0_24 Depth=3
	global_load_dword v22, v[8:9], off offset:8
	v_mov_b32_e32 v23, s48
	ds_read_b32 v23, v23 offset:8
	s_waitcnt vmcnt(0) lgkmcnt(0)
	v_mul_f32_e32 v22, v22, v23
.LBB0_34:                               ;   in Loop: Header=BB0_24 Depth=3
	s_andn2_saveexec_b64 s[40:41], s[40:41]
; %bb.35:                               ;   in Loop: Header=BB0_24 Depth=3
	v_mov_b32_e32 v22, s48
	ds_read_b32 v22, v22 offset:8
; %bb.36:                               ;   in Loop: Header=BB0_24 Depth=3
	s_or_b64 exec, exec, s[40:41]
	v_cmp_ne_u32_e32 vcc, s45, v20
	s_or_b64 s[40:41], s[28:29], vcc
                                        ; implicit-def: $vgpr20
	s_and_saveexec_b64 s[50:51], s[40:41]
	s_xor_b64 s[40:41], exec, s[50:51]
	s_cbranch_execz .LBB0_38
; %bb.37:                               ;   in Loop: Header=BB0_24 Depth=3
	global_load_dword v20, v[8:9], off offset:12
	v_mov_b32_e32 v23, s48
	ds_read_b32 v23, v23 offset:12
	s_waitcnt vmcnt(0) lgkmcnt(0)
	v_mul_f32_e32 v20, v20, v23
.LBB0_38:                               ;   in Loop: Header=BB0_24 Depth=3
	s_andn2_saveexec_b64 s[40:41], s[40:41]
	s_cbranch_execz .LBB0_23
; %bb.39:                               ;   in Loop: Header=BB0_24 Depth=3
	v_mov_b32_e32 v20, s48
	ds_read_b32 v20, v20 offset:12
	s_branch .LBB0_23
.LBB0_40:                               ;   in Loop: Header=BB0_5 Depth=1
	s_or_b64 exec, exec, s[34:35]
.LBB0_41:                               ;   in Loop: Header=BB0_5 Depth=1
	s_and_saveexec_b64 s[34:35], s[0:1]
	s_cbranch_execz .LBB0_4
; %bb.42:                               ;   in Loop: Header=BB0_5 Depth=1
	ds_read_b32 v8, v1
	v_mad_u64_u32 v[4:5], s[0:1], s6, v14, 0
	v_mov_b32_e32 v6, v5
	v_mad_u64_u32 v[6:7], s[0:1], s7, v14, v[6:7]
	v_mov_b32_e32 v5, v6
	v_lshl_add_u64 v[4:5], v[4:5], 2, s[12:13]
	s_waitcnt lgkmcnt(0)
	global_store_dword v[4:5], v8, off
	s_branch .LBB0_4
.LBB0_43:
	s_mov_b64 s[0:1], 0
.LBB0_44:
	s_andn2_b64 vcc, exec, s[0:1]
	s_cbranch_vccnz .LBB0_92
; %bb.45:
	s_andn2_b64 vcc, exec, s[16:17]
	s_cbranch_vccnz .LBB0_92
; %bb.46:
	v_mov_b32_e32 v1, 0x800
	v_mov_b32_e32 v3, 0
	v_lshl_or_b32 v14, v0, 2, v1
	v_mov_b32_e32 v1, v3
	v_mad_u64_u32 v[4:5], s[0:1], v0, v0, v[0:1]
	v_lshlrev_b32_e32 v2, 10, v0
	s_mov_b64 s[0:1], 0x40200
	v_lshl_add_u64 v[6:7], v[2:3], 0, s[0:1]
	v_or_b32_e32 v2, 0x200, v0
	s_mov_b32 s14, 0
	v_add_u32_e32 v1, 0x201, v0
	s_xor_b64 s[4:5], s[8:9], -1
	s_mov_b64 s[26:27], 0x200
	s_mov_b64 s[28:29], 0x80000
	v_mov_b64_e32 v[8:9], v[2:3]
	s_mov_b64 s[30:31], s[10:11]
	s_branch .LBB0_48
.LBB0_47:                               ;   in Loop: Header=BB0_48 Depth=1
	s_or_b64 exec, exec, s[34:35]
	s_add_u32 s30, s30, 0x800
	v_lshl_add_u64 v[10:11], v[6:7], 0, s[28:29]
	s_addc_u32 s31, s31, 0
	v_lshl_add_u64 v[4:5], v[4:5], 0, v[6:7]
	v_lshl_add_u64 v[8:9], v[8:9], 0, s[26:27]
	v_add_u32_e32 v1, 0x200, v1
	s_and_b64 vcc, exec, s[2:3]
	v_mov_b64_e32 v[6:7], v[10:11]
	s_mov_b32 s14, s33
	s_barrier
	s_cbranch_vccnz .LBB0_92
.LBB0_48:                               ; =>This Loop Header: Depth=1
                                        ;     Child Loop BB0_52 Depth 2
                                        ;     Child Loop BB0_66 Depth 2
                                        ;       Child Loop BB0_69 Depth 3
	v_add_u32_e32 v15, s14, v0
	v_cmp_le_i32_e32 vcc, s15, v15
	v_cmp_gt_i32_e64 s[0:1], s15, v15
	s_and_saveexec_b64 s[2:3], s[0:1]
	s_cbranch_execz .LBB0_50
; %bb.49:                               ;   in Loop: Header=BB0_48 Depth=1
	v_mad_u64_u32 v[10:11], s[34:35], s6, v15, 0
	v_mov_b32_e32 v2, v11
	v_mad_u64_u32 v[12:13], s[34:35], s7, v15, v[2:3]
	v_mov_b32_e32 v11, v12
	v_lshl_add_u64 v[10:11], v[10:11], 2, s[12:13]
	global_load_dword v2, v[10:11], off
	s_waitcnt vmcnt(0)
	ds_write_b32 v14, v2
.LBB0_50:                               ;   in Loop: Header=BB0_48 Depth=1
	s_or_b64 exec, exec, s[2:3]
	v_or_b32_e32 v2, s14, v0
	v_add_u32_e32 v12, 1, v2
	v_mad_u64_u32 v[12:13], s[34:35], v12, v2, 0
	v_lshlrev_b64 v[12:13], 1, v[12:13]
	v_lshlrev_b64 v[10:11], 1, v[4:5]
	v_and_b32_e32 v12, -4, v12
	v_and_b32_e32 v10, -4, v10
	v_lshl_add_u64 v[12:13], s[10:11], 0, v[12:13]
	v_lshl_add_u64 v[10:11], s[30:31], 0, v[10:11]
	v_cmp_le_i32_e64 s[2:3], s15, v2
	v_lshl_add_u64 v[12:13], v[2:3], 2, v[12:13]
	s_mov_b32 s38, 0
	s_movk_i32 s33, 0x800
	s_xor_b64 s[34:35], vcc, -1
	s_waitcnt lgkmcnt(0)
	s_barrier
	s_branch .LBB0_52
.LBB0_51:                               ;   in Loop: Header=BB0_52 Depth=2
	s_or_b64 exec, exec, s[36:37]
	s_add_i32 s33, s33, 8
	s_add_i32 s38, s39, 1
	s_cmpk_eq_i32 s38, 0x200
	v_lshl_add_u64 v[10:11], v[10:11], 0, 8
	s_cbranch_scc1 .LBB0_62
.LBB0_52:                               ;   Parent Loop BB0_48 Depth=1
                                        ; =>  This Inner Loop Header: Depth=2
	v_cmp_ne_u32_e32 vcc, s38, v0
	s_or_b64 s[36:37], s[8:9], vcc
	s_nor_b64 s[40:41], s[36:37], s[2:3]
	s_and_saveexec_b64 s[36:37], s[40:41]
	s_cbranch_execz .LBB0_54
; %bb.53:                               ;   in Loop: Header=BB0_52 Depth=2
	global_load_dword v2, v[12:13], off
	ds_read_b32 v16, v14
	s_waitcnt vmcnt(0) lgkmcnt(0)
	v_div_scale_f32 v17, s[40:41], v2, v2, v16
	v_rcp_f32_e32 v18, v17
	v_div_scale_f32 v19, vcc, v16, v2, v16
	v_fma_f32 v20, -v17, v18, 1.0
	v_fmac_f32_e32 v18, v20, v18
	v_mul_f32_e32 v20, v19, v18
	v_fma_f32 v21, -v17, v20, v19
	v_fmac_f32_e32 v20, v21, v18
	v_fma_f32 v17, -v17, v20, v19
	v_div_fmas_f32 v17, v17, v18, v20
	v_div_fixup_f32 v2, v17, v2, v16
	ds_write_b32 v14, v2
.LBB0_54:                               ;   in Loop: Header=BB0_52 Depth=2
	s_or_b64 exec, exec, s[36:37]
	v_cmp_lt_u32_e32 vcc, s38, v0
	s_waitcnt lgkmcnt(0)
	s_barrier
	s_and_saveexec_b64 s[36:37], vcc
	s_cbranch_execz .LBB0_57
; %bb.55:                               ;   in Loop: Header=BB0_52 Depth=2
	s_add_i32 s39, s14, s38
	s_cmp_lt_i32 s39, s15
	s_cselect_b64 s[40:41], -1, 0
	s_and_b64 s[40:41], s[34:35], s[40:41]
	s_and_b64 exec, exec, s[40:41]
	s_cbranch_execz .LBB0_57
; %bb.56:                               ;   in Loop: Header=BB0_52 Depth=2
	global_load_dword v2, v[10:11], off
	v_mov_b32_e32 v16, s33
	ds_read_b32 v16, v16
	ds_read_b32 v17, v14
	s_waitcnt vmcnt(0) lgkmcnt(0)
	v_fma_f32 v2, -v2, v16, v17
	ds_write_b32 v14, v2
.LBB0_57:                               ;   in Loop: Header=BB0_52 Depth=2
	s_or_b64 exec, exec, s[36:37]
	s_add_i32 s39, s38, 1
	v_cmp_ne_u32_e32 vcc, s39, v0
	s_or_b64 s[36:37], s[8:9], vcc
	s_nor_b64 s[40:41], s[36:37], s[2:3]
	s_and_saveexec_b64 s[36:37], s[40:41]
	s_cbranch_execz .LBB0_59
; %bb.58:                               ;   in Loop: Header=BB0_52 Depth=2
	global_load_dword v2, v[12:13], off
	ds_read_b32 v16, v14
	s_waitcnt vmcnt(0) lgkmcnt(0)
	v_div_scale_f32 v17, s[40:41], v2, v2, v16
	v_rcp_f32_e32 v18, v17
	v_div_scale_f32 v19, vcc, v16, v2, v16
	v_fma_f32 v20, -v17, v18, 1.0
	v_fmac_f32_e32 v18, v20, v18
	v_mul_f32_e32 v20, v19, v18
	v_fma_f32 v21, -v17, v20, v19
	v_fmac_f32_e32 v20, v21, v18
	v_fma_f32 v17, -v17, v20, v19
	v_div_fmas_f32 v17, v17, v18, v20
	v_div_fixup_f32 v2, v17, v2, v16
	ds_write_b32 v14, v2
.LBB0_59:                               ;   in Loop: Header=BB0_52 Depth=2
	s_or_b64 exec, exec, s[36:37]
	v_cmp_lt_u32_e32 vcc, s39, v0
	s_waitcnt lgkmcnt(0)
	s_barrier
	s_and_saveexec_b64 s[36:37], vcc
	s_cbranch_execz .LBB0_51
; %bb.60:                               ;   in Loop: Header=BB0_52 Depth=2
	s_add_i32 s38, s14, s38
	s_add_i32 s38, s38, 1
	s_cmp_lt_i32 s38, s15
	s_cselect_b64 s[40:41], -1, 0
	s_and_b64 s[40:41], s[34:35], s[40:41]
	s_and_b64 exec, exec, s[40:41]
	s_cbranch_execz .LBB0_51
; %bb.61:                               ;   in Loop: Header=BB0_52 Depth=2
	global_load_dword v2, v[10:11], off offset:4
	v_mov_b32_e32 v16, s33
	ds_read_b32 v16, v16 offset:4
	ds_read_b32 v17, v14
	s_waitcnt vmcnt(0) lgkmcnt(0)
	v_fma_f32 v2, -v2, v16, v17
	ds_write_b32 v14, v2
	s_branch .LBB0_51
.LBB0_62:                               ;   in Loop: Header=BB0_48 Depth=1
	s_add_i32 s33, s14, 0x200
	s_cmp_ge_i32 s33, s15
	s_cselect_b64 s[2:3], -1, 0
	s_and_b64 vcc, exec, s[2:3]
	s_waitcnt lgkmcnt(0)
	s_barrier
	s_cbranch_vccnz .LBB0_90
; %bb.63:                               ;   in Loop: Header=BB0_48 Depth=1
	s_mov_b64 s[34:35], 0
	v_mov_b32_e32 v2, v1
	v_mov_b64_e32 v[10:11], v[8:9]
	v_mov_b32_e32 v16, v0
	s_mov_b32 s42, s33
                                        ; implicit-def: $sgpr36_sgpr37
	s_branch .LBB0_66
.LBB0_64:                               ;   in Loop: Header=BB0_66 Depth=2
	v_mad_u64_u32 v[12:13], s[40:41], s6, v17, 0
	v_mov_b32_e32 v20, v13
	v_mad_u64_u32 v[20:21], s[40:41], s7, v17, v[20:21]
	v_mov_b32_e32 v13, v20
	v_lshl_add_u64 v[12:13], v[12:13], 2, s[12:13]
	global_load_dword v17, v[12:13], off
	s_addk_i32 s42, 0x200
	s_cmp_ge_i32 s42, s15
	s_cselect_b64 s[40:41], -1, 0
	s_andn2_b64 s[36:37], s[36:37], exec
	s_and_b64 s[40:41], s[40:41], exec
	v_lshl_add_u64 v[10:11], v[10:11], 0, s[26:27]
	v_add_u32_e32 v2, 0x200, v2
	s_or_b64 s[36:37], s[36:37], s[40:41]
	s_waitcnt vmcnt(0)
	v_sub_f32_e32 v17, v17, v18
	global_store_dword v[12:13], v17, off
.LBB0_65:                               ;   in Loop: Header=BB0_66 Depth=2
	s_or_b64 exec, exec, s[38:39]
	s_and_b64 s[38:39], exec, s[36:37]
	s_or_b64 s[34:35], s[38:39], s[34:35]
	s_andn2_b64 exec, exec, s[34:35]
	s_cbranch_execz .LBB0_89
.LBB0_66:                               ;   Parent Loop BB0_48 Depth=1
                                        ; =>  This Loop Header: Depth=2
                                        ;       Child Loop BB0_69 Depth 3
	v_add_u32_e32 v17, s42, v0
	v_cmp_gt_i32_e32 vcc, s15, v17
	s_or_b64 s[36:37], s[36:37], exec
	s_and_saveexec_b64 s[38:39], vcc
	s_cbranch_execz .LBB0_65
; %bb.67:                               ;   in Loop: Header=BB0_66 Depth=2
	v_mad_u64_u32 v[12:13], s[40:41], v10, v2, 0
	v_mov_b32_e32 v18, v13
	v_mad_u64_u32 v[18:19], s[40:41], v11, v2, v[18:19]
	v_mov_b32_e32 v13, v18
	v_lshlrev_b64 v[12:13], 1, v[12:13]
	v_and_b32_e32 v12, -4, v12
	v_lshl_add_u64 v[12:13], s[30:31], 0, v[12:13]
	v_add_u32_e32 v19, 0x1fd, v16
	v_add_u32_e32 v20, 0x1fe, v16
	;; [unrolled: 1-line block ×4, first 2 shown]
	v_mov_b32_e32 v18, 0
	s_mov_b32 s43, 0
	s_movk_i32 s44, 0x800
	s_branch .LBB0_69
.LBB0_68:                               ;   in Loop: Header=BB0_69 Depth=3
	s_or_b64 exec, exec, s[40:41]
	s_add_i32 s43, s43, 4
	s_add_i32 s44, s44, 16
	s_cmpk_eq_i32 s43, 0x200
	v_lshl_add_u64 v[12:13], v[12:13], 0, 16
	s_cbranch_scc1 .LBB0_64
.LBB0_69:                               ;   Parent Loop BB0_48 Depth=1
                                        ;     Parent Loop BB0_66 Depth=2
                                        ; =>    This Inner Loop Header: Depth=3
	v_cmp_ne_u32_e32 vcc, s43, v16
	s_add_i32 s45, s14, s43
	s_or_b64 s[40:41], s[4:5], vcc
	s_and_saveexec_b64 s[46:47], s[40:41]
	s_xor_b64 s[40:41], exec, s[46:47]
	s_cbranch_execz .LBB0_72
; %bb.70:                               ;   in Loop: Header=BB0_69 Depth=3
	s_cmp_ge_i32 s45, s15
	s_cbranch_scc1 .LBB0_72
; %bb.71:                               ;   in Loop: Header=BB0_69 Depth=3
	global_load_dword v22, v[12:13], off
	v_mov_b32_e32 v23, s44
	ds_read_b32 v23, v23
	s_waitcnt vmcnt(0) lgkmcnt(0)
	v_fmac_f32_e32 v18, v22, v23
.LBB0_72:                               ;   in Loop: Header=BB0_69 Depth=3
	s_andn2_saveexec_b64 s[40:41], s[40:41]
	s_cbranch_execz .LBB0_74
; %bb.73:                               ;   in Loop: Header=BB0_69 Depth=3
	v_mov_b32_e32 v22, s44
	ds_read_b32 v22, v22
	s_waitcnt lgkmcnt(0)
	v_add_f32_e32 v18, v18, v22
.LBB0_74:                               ;   in Loop: Header=BB0_69 Depth=3
	s_or_b64 exec, exec, s[40:41]
	v_cmp_ne_u32_e32 vcc, s43, v21
	s_or_b64 s[40:41], s[4:5], vcc
	s_and_saveexec_b64 s[46:47], s[40:41]
	s_xor_b64 s[40:41], exec, s[46:47]
	s_cbranch_execz .LBB0_77
; %bb.75:                               ;   in Loop: Header=BB0_69 Depth=3
	s_add_i32 s46, s45, 1
	s_cmp_ge_i32 s46, s15
	s_cbranch_scc1 .LBB0_77
; %bb.76:                               ;   in Loop: Header=BB0_69 Depth=3
	global_load_dword v22, v[12:13], off offset:4
	v_mov_b32_e32 v23, s44
	ds_read_b32 v23, v23 offset:4
	s_waitcnt vmcnt(0) lgkmcnt(0)
	v_fmac_f32_e32 v18, v22, v23
.LBB0_77:                               ;   in Loop: Header=BB0_69 Depth=3
	s_andn2_saveexec_b64 s[40:41], s[40:41]
	s_cbranch_execz .LBB0_79
; %bb.78:                               ;   in Loop: Header=BB0_69 Depth=3
	v_mov_b32_e32 v22, s44
	ds_read_b32 v22, v22 offset:4
	s_waitcnt lgkmcnt(0)
	v_add_f32_e32 v18, v18, v22
.LBB0_79:                               ;   in Loop: Header=BB0_69 Depth=3
	s_or_b64 exec, exec, s[40:41]
	v_cmp_ne_u32_e32 vcc, s43, v20
	s_or_b64 s[40:41], s[4:5], vcc
	s_and_saveexec_b64 s[46:47], s[40:41]
	s_xor_b64 s[40:41], exec, s[46:47]
	s_cbranch_execz .LBB0_82
; %bb.80:                               ;   in Loop: Header=BB0_69 Depth=3
	s_add_i32 s46, s45, 2
	s_cmp_ge_i32 s46, s15
	s_cbranch_scc1 .LBB0_82
; %bb.81:                               ;   in Loop: Header=BB0_69 Depth=3
	global_load_dword v22, v[12:13], off offset:8
	v_mov_b32_e32 v23, s44
	ds_read_b32 v23, v23 offset:8
	s_waitcnt vmcnt(0) lgkmcnt(0)
	v_fmac_f32_e32 v18, v22, v23
.LBB0_82:                               ;   in Loop: Header=BB0_69 Depth=3
	s_andn2_saveexec_b64 s[40:41], s[40:41]
	s_cbranch_execz .LBB0_84
; %bb.83:                               ;   in Loop: Header=BB0_69 Depth=3
	v_mov_b32_e32 v22, s44
	ds_read_b32 v22, v22 offset:8
	s_waitcnt lgkmcnt(0)
	v_add_f32_e32 v18, v18, v22
.LBB0_84:                               ;   in Loop: Header=BB0_69 Depth=3
	s_or_b64 exec, exec, s[40:41]
	v_cmp_ne_u32_e32 vcc, s43, v19
	s_or_b64 s[40:41], s[4:5], vcc
	s_and_saveexec_b64 s[46:47], s[40:41]
	s_xor_b64 s[40:41], exec, s[46:47]
	s_cbranch_execz .LBB0_87
; %bb.85:                               ;   in Loop: Header=BB0_69 Depth=3
	s_add_i32 s45, s45, 3
	s_cmp_ge_i32 s45, s15
	s_cbranch_scc1 .LBB0_87
; %bb.86:                               ;   in Loop: Header=BB0_69 Depth=3
	global_load_dword v22, v[12:13], off offset:12
	v_mov_b32_e32 v23, s44
	ds_read_b32 v23, v23 offset:12
	s_waitcnt vmcnt(0) lgkmcnt(0)
	v_fmac_f32_e32 v18, v22, v23
.LBB0_87:                               ;   in Loop: Header=BB0_69 Depth=3
	s_andn2_saveexec_b64 s[40:41], s[40:41]
	s_cbranch_execz .LBB0_68
; %bb.88:                               ;   in Loop: Header=BB0_69 Depth=3
	v_mov_b32_e32 v22, s44
	ds_read_b32 v22, v22 offset:12
	s_waitcnt lgkmcnt(0)
	v_add_f32_e32 v18, v18, v22
	s_branch .LBB0_68
.LBB0_89:                               ;   in Loop: Header=BB0_48 Depth=1
	s_or_b64 exec, exec, s[34:35]
.LBB0_90:                               ;   in Loop: Header=BB0_48 Depth=1
	s_and_saveexec_b64 s[34:35], s[0:1]
	s_cbranch_execz .LBB0_47
; %bb.91:                               ;   in Loop: Header=BB0_48 Depth=1
	ds_read_b32 v16, v14
	v_mad_u64_u32 v[10:11], s[0:1], s6, v15, 0
	v_mov_b32_e32 v2, v11
	v_mad_u64_u32 v[12:13], s[0:1], s7, v15, v[2:3]
	v_mov_b32_e32 v11, v12
	v_lshl_add_u64 v[10:11], v[10:11], 2, s[12:13]
	s_waitcnt lgkmcnt(0)
	global_store_dword v[10:11], v16, off
	s_branch .LBB0_47
.LBB0_92:
	s_mov_b64 s[0:1], 0
.LBB0_93:
	s_andn2_b64 vcc, exec, s[0:1]
	s_cbranch_vccnz .LBB0_180
; %bb.94:
	s_mov_b64 s[0:1], -1
	s_and_b64 vcc, exec, s[22:23]
	s_cbranch_vccz .LBB0_134
; %bb.95:
	s_andn2_b64 vcc, exec, s[16:17]
	s_cbranch_vccnz .LBB0_133
; %bb.96:
	s_lshl_b32 s22, s15, 1
	s_or_b32 s14, s22, 1
	s_add_u32 s0, s20, s24
	s_addc_u32 s1, s21, s25
	s_add_u32 s18, s18, s0
	s_addc_u32 s19, s19, s1
	s_ashr_i32 s23, s22, 31
	s_lshl_b64 s[0:1], s[22:23], 9
	s_add_u32 s42, s0, 0xfffbfe00
	s_addc_u32 s43, s1, -1
	s_lshl_b64 s[2:3], s[22:23], 1
	s_add_u32 s20, s2, -6
	s_addc_u32 s21, s3, -1
	s_add_u32 s38, s0, 0xfffc0200
	s_addc_u32 s39, s1, -1
	v_mov_b32_e32 v1, 0
	s_add_u32 s24, s2, -2
	v_lshlrev_b32_e32 v2, 2, v0
	v_mov_b32_e32 v3, v1
	s_addc_u32 s25, s3, -1
	v_lshl_add_u64 v[4:5], s[18:19], 0, v[2:3]
	s_add_u32 s26, s18, -4
	v_lshl_add_u64 v[6:7], v[4:5], 0, -4
	s_addc_u32 s27, s19, -1
	v_or_b32_e32 v8, 0x200, v0
	s_mov_b64 s[28:29], 0
	s_mov_b64 s[30:31], 0x200
	;; [unrolled: 1-line block ×6, first 2 shown]
	s_branch .LBB0_98
.LBB0_97:                               ;   in Loop: Header=BB0_98 Depth=1
	s_or_b64 exec, exec, s[44:45]
	s_add_u32 s0, s42, 0xfff80000
	s_addc_u32 s1, s43, -1
	s_add_u32 s22, s22, s42
	s_addc_u32 s23, s23, s43
	s_add_u32 s20, s20, 0xfffff800
	s_addc_u32 s21, s21, -1
	s_add_u32 s42, s38, 0xfff80000
	s_addc_u32 s43, s39, -1
	s_add_u32 s28, s28, s38
	s_addc_u32 s29, s29, s39
	s_add_u32 s24, s24, 0xfffff800
	s_addc_u32 s25, s25, -1
	s_add_u32 s40, s40, 0xfffffe00
	s_addc_u32 s41, s41, -1
	v_add_u32_e32 v8, 0x200, v8
	s_and_b64 vcc, exec, s[4:5]
	s_mov_b64 s[38:39], s[42:43]
	s_mov_b64 s[44:45], s[2:3]
	s_mov_b64 s[42:43], s[0:1]
	s_barrier
	s_cbranch_vccnz .LBB0_133
.LBB0_98:                               ; =>This Loop Header: Depth=1
                                        ;     Child Loop BB0_102 Depth 2
                                        ;     Child Loop BB0_116 Depth 2
                                        ;       Child Loop BB0_118 Depth 3
	v_add_u32_e32 v3, s44, v0
	v_cmp_le_i32_e64 s[2:3], s15, v3
	v_cmp_gt_i32_e64 s[0:1], s15, v3
	s_and_saveexec_b64 s[4:5], s[0:1]
	s_cbranch_execz .LBB0_100
; %bb.99:                               ;   in Loop: Header=BB0_98 Depth=1
	v_mad_u64_u32 v[10:11], s[46:47], s6, v3, 0
	v_mov_b32_e32 v12, v11
	v_mad_u64_u32 v[12:13], s[46:47], s7, v3, v[12:13]
	v_mov_b32_e32 v11, v12
	v_lshl_add_u64 v[10:11], v[10:11], 2, s[12:13]
	global_load_dword v9, v[10:11], off
	s_waitcnt vmcnt(0)
	ds_write_b32 v2, v9
.LBB0_100:                              ;   in Loop: Header=BB0_98 Depth=1
	s_or_b64 exec, exec, s[4:5]
	v_or_b32_e32 v9, s44, v0
	v_sub_u32_e32 v10, s14, v9
	v_ashrrev_i32_e32 v13, 31, v10
	v_mad_u64_u32 v[10:11], s[46:47], v10, v9, 0
	v_mov_b32_e32 v12, v11
	v_mad_u64_u32 v[12:13], s[46:47], v13, v9, v[12:13]
	v_mov_b32_e32 v11, v12
	v_lshlrev_b64 v[10:11], 1, v[10:11]
	v_and_b32_e32 v10, -4, v10
	v_cmp_le_i32_e64 s[4:5], s15, v9
	v_lshl_add_u64 v[10:11], s[10:11], 0, v[10:11]
	s_mov_b32 s33, 0
	s_mov_b64 s[54:55], 0
	s_mov_b64 s[46:47], s[28:29]
	;; [unrolled: 1-line block ×3, first 2 shown]
	v_mov_b64_e32 v[12:13], v[4:5]
	s_mov_b64 s[48:49], s[22:23]
	s_mov_b64 s[52:53], s[20:21]
	v_mov_b64_e32 v[14:15], v[6:7]
	s_waitcnt lgkmcnt(0)
	s_barrier
	s_branch .LBB0_102
.LBB0_101:                              ;   in Loop: Header=BB0_102 Depth=2
	s_or_b64 exec, exec, s[56:57]
	s_add_i32 s33, s33, 8
	s_add_u32 s56, s52, -8
	s_addc_u32 s57, s53, -1
	s_add_u32 s48, s48, s52
	s_addc_u32 s49, s49, s53
	s_add_u32 s52, s50, -8
	s_addc_u32 s53, s51, -1
	s_add_u32 s46, s46, s50
	s_addc_u32 s47, s47, s51
	s_add_u32 s54, s58, 1
	s_addc_u32 s55, s55, 0
	v_lshl_add_u64 v[14:15], v[14:15], 0, -8
	v_lshl_add_u64 v[12:13], v[12:13], 0, -8
	s_cmpk_eq_i32 s54, 0x200
	s_mov_b64 s[50:51], s[52:53]
	s_mov_b64 s[52:53], s[56:57]
	s_cbranch_scc1 .LBB0_112
.LBB0_102:                              ;   Parent Loop BB0_98 Depth=1
                                        ; =>  This Inner Loop Header: Depth=2
	v_cmp_ne_u32_e32 vcc, s54, v0
	s_or_b64 s[56:57], s[8:9], vcc
	s_nor_b64 s[58:59], s[56:57], s[4:5]
	s_and_saveexec_b64 s[56:57], s[58:59]
	s_cbranch_execz .LBB0_104
; %bb.103:                              ;   in Loop: Header=BB0_102 Depth=2
	global_load_dword v9, v[10:11], off
	ds_read_b32 v16, v2
	s_waitcnt vmcnt(0) lgkmcnt(0)
	v_div_scale_f32 v17, s[58:59], v9, v9, v16
	v_rcp_f32_e32 v18, v17
	v_div_scale_f32 v19, vcc, v16, v9, v16
	v_fma_f32 v20, -v17, v18, 1.0
	v_fmac_f32_e32 v18, v20, v18
	v_mul_f32_e32 v20, v19, v18
	v_fma_f32 v21, -v17, v20, v19
	v_fmac_f32_e32 v20, v21, v18
	v_fma_f32 v17, -v17, v20, v19
	v_div_fmas_f32 v17, v17, v18, v20
	v_div_fixup_f32 v9, v17, v9, v16
	ds_write_b32 v2, v9
.LBB0_104:                              ;   in Loop: Header=BB0_102 Depth=2
	s_or_b64 exec, exec, s[56:57]
	v_cmp_lt_u32_e32 vcc, s54, v0
	s_waitcnt lgkmcnt(0)
	s_barrier
	s_and_saveexec_b64 s[56:57], vcc
	s_cbranch_execz .LBB0_107
; %bb.105:                              ;   in Loop: Header=BB0_102 Depth=2
	s_add_i32 s58, s44, s54
	s_cmp_lt_i32 s58, s15
	s_cselect_b64 s[58:59], -1, 0
	s_xor_b64 s[60:61], s[2:3], -1
	s_and_b64 s[58:59], s[60:61], s[58:59]
	s_and_b64 exec, exec, s[58:59]
	s_cbranch_execz .LBB0_107
; %bb.106:                              ;   in Loop: Header=BB0_102 Depth=2
	s_lshl_b64 s[58:59], s[46:47], 1
	s_and_b32 s58, s58, -4
	v_lshl_add_u64 v[16:17], v[12:13], 0, s[58:59]
	global_load_dword v9, v[16:17], off
	v_mov_b32_e32 v16, s33
	ds_read_b32 v16, v16
	ds_read_b32 v17, v2
	s_waitcnt vmcnt(0) lgkmcnt(0)
	v_fma_f32 v9, -v9, v16, v17
	ds_write_b32 v2, v9
.LBB0_107:                              ;   in Loop: Header=BB0_102 Depth=2
	s_or_b64 exec, exec, s[56:57]
	s_add_u32 s58, s54, 1
	v_cmp_ne_u32_e32 vcc, s58, v0
	s_addc_u32 s55, s55, 0
	s_or_b64 s[56:57], s[8:9], vcc
	s_nor_b64 s[60:61], s[56:57], s[4:5]
	s_and_saveexec_b64 s[56:57], s[60:61]
	s_cbranch_execz .LBB0_109
; %bb.108:                              ;   in Loop: Header=BB0_102 Depth=2
	global_load_dword v9, v[10:11], off
	ds_read_b32 v16, v2
	s_waitcnt vmcnt(0) lgkmcnt(0)
	v_div_scale_f32 v17, s[60:61], v9, v9, v16
	v_rcp_f32_e32 v18, v17
	v_div_scale_f32 v19, vcc, v16, v9, v16
	v_fma_f32 v20, -v17, v18, 1.0
	v_fmac_f32_e32 v18, v20, v18
	v_mul_f32_e32 v20, v19, v18
	v_fma_f32 v21, -v17, v20, v19
	v_fmac_f32_e32 v20, v21, v18
	v_fma_f32 v17, -v17, v20, v19
	v_div_fmas_f32 v17, v17, v18, v20
	v_div_fixup_f32 v9, v17, v9, v16
	ds_write_b32 v2, v9
.LBB0_109:                              ;   in Loop: Header=BB0_102 Depth=2
	s_or_b64 exec, exec, s[56:57]
	v_cmp_lt_u32_e32 vcc, s58, v0
	s_waitcnt lgkmcnt(0)
	s_barrier
	s_and_saveexec_b64 s[56:57], vcc
	s_cbranch_execz .LBB0_101
; %bb.110:                              ;   in Loop: Header=BB0_102 Depth=2
	s_add_i32 s54, s44, s54
	s_add_i32 s54, s54, 1
	s_cmp_lt_i32 s54, s15
	s_cselect_b64 s[60:61], -1, 0
	s_xor_b64 s[62:63], s[2:3], -1
	s_and_b64 s[60:61], s[62:63], s[60:61]
	s_and_b64 exec, exec, s[60:61]
	s_cbranch_execz .LBB0_101
; %bb.111:                              ;   in Loop: Header=BB0_102 Depth=2
	s_lshl_b64 s[60:61], s[48:49], 1
	s_and_b32 s60, s60, -4
	v_lshl_add_u64 v[16:17], v[14:15], 0, s[60:61]
	global_load_dword v9, v[16:17], off
	v_mov_b32_e32 v16, s33
	ds_read_b32 v16, v16 offset:4
	ds_read_b32 v17, v2
	s_waitcnt vmcnt(0) lgkmcnt(0)
	v_fma_f32 v9, -v9, v16, v17
	ds_write_b32 v2, v9
	s_branch .LBB0_101
.LBB0_112:                              ;   in Loop: Header=BB0_98 Depth=1
	s_add_u32 s2, s44, 0x200
	s_addc_u32 s3, s45, 0
	s_cmp_ge_i32 s2, s15
	s_cselect_b64 s[4:5], -1, 0
	s_and_b64 vcc, exec, s[4:5]
	s_waitcnt lgkmcnt(0)
	s_barrier
	s_cbranch_vccnz .LBB0_131
; %bb.113:                              ;   in Loop: Header=BB0_98 Depth=1
	v_ashrrev_i32_e32 v9, 31, v8
	v_lshl_add_u64 v[10:11], s[40:41], 0, v[8:9]
	v_lshlrev_b64 v[12:13], 2, v[10:11]
	s_mov_b32 s33, s2
	v_lshl_add_u64 v[10:11], s[26:27], 0, v[12:13]
	v_lshl_add_u64 v[12:13], s[18:19], 0, v[12:13]
	s_mov_b64 s[46:47], 0
	v_mov_b64_e32 v[14:15], v[0:1]
                                        ; implicit-def: $sgpr48_sgpr49
	s_branch .LBB0_116
.LBB0_114:                              ;   in Loop: Header=BB0_116 Depth=2
	v_mad_u64_u32 v[18:19], s[52:53], s6, v9, 0
	v_mov_b32_e32 v16, v19
	v_mad_u64_u32 v[20:21], s[52:53], s7, v9, v[16:17]
	v_mov_b32_e32 v19, v20
	v_lshl_add_u64 v[18:19], v[18:19], 2, s[12:13]
	global_load_dword v9, v[18:19], off
	s_addk_i32 s33, 0x200
	s_cmp_ge_i32 s33, s15
	s_cselect_b64 s[52:53], -1, 0
	s_andn2_b64 s[48:49], s[48:49], exec
	s_and_b64 s[52:53], s[52:53], exec
	v_lshl_add_u64 v[10:11], v[10:11], 0, s[36:37]
	v_lshl_add_u64 v[12:13], v[12:13], 0, s[36:37]
	s_or_b64 s[48:49], s[48:49], s[52:53]
	s_waitcnt vmcnt(0)
	v_sub_f32_e32 v9, v9, v17
	global_store_dword v[18:19], v9, off
.LBB0_115:                              ;   in Loop: Header=BB0_116 Depth=2
	s_or_b64 exec, exec, s[50:51]
	s_and_b64 s[50:51], exec, s[48:49]
	s_or_b64 s[46:47], s[50:51], s[46:47]
	s_andn2_b64 exec, exec, s[46:47]
	s_cbranch_execz .LBB0_130
.LBB0_116:                              ;   Parent Loop BB0_98 Depth=1
                                        ; =>  This Loop Header: Depth=2
                                        ;       Child Loop BB0_118 Depth 3
	v_add_u32_e32 v9, s33, v0
	v_cmp_gt_i32_e32 vcc, s15, v9
	s_or_b64 s[48:49], s[48:49], exec
	s_and_saveexec_b64 s[50:51], vcc
	s_cbranch_execz .LBB0_115
; %bb.117:                              ;   in Loop: Header=BB0_116 Depth=2
	v_lshl_add_u64 v[16:17], v[14:15], 0, s[34:35]
	v_lshl_add_u64 v[14:15], v[14:15], 0, s[30:31]
	v_mov_b32_e32 v17, 0
	s_mov_b64 s[52:53], 0
	s_mov_b32 s45, 0
	s_mov_b64 s[54:55], s[28:29]
	s_mov_b64 s[58:59], s[24:25]
	v_mov_b64_e32 v[18:19], v[12:13]
	s_mov_b64 s[56:57], s[22:23]
	s_mov_b64 s[60:61], s[20:21]
	v_mov_b64_e32 v[20:21], v[10:11]
.LBB0_118:                              ;   Parent Loop BB0_98 Depth=1
                                        ;     Parent Loop BB0_116 Depth=2
                                        ; =>    This Inner Loop Header: Depth=3
	v_cmp_ne_u32_e32 vcc, s52, v14
	s_xor_b64 s[62:63], s[8:9], -1
	s_add_u32 s66, s44, s52
	s_or_b64 s[64:65], s[62:63], vcc
	s_and_saveexec_b64 s[68:69], s[64:65]
	s_xor_b64 s[64:65], exec, s[68:69]
	s_cbranch_execz .LBB0_121
; %bb.119:                              ;   in Loop: Header=BB0_118 Depth=3
	s_cmp_ge_i32 s66, s15
	s_cbranch_scc1 .LBB0_121
; %bb.120:                              ;   in Loop: Header=BB0_118 Depth=3
	s_lshl_b64 s[68:69], s[54:55], 1
	s_and_b32 s68, s68, -4
	v_lshl_add_u64 v[22:23], v[18:19], 0, s[68:69]
	global_load_dword v22, v[22:23], off
	v_mov_b32_e32 v23, s45
	ds_read_b32 v23, v23
	s_waitcnt vmcnt(0) lgkmcnt(0)
	v_fmac_f32_e32 v17, v22, v23
.LBB0_121:                              ;   in Loop: Header=BB0_118 Depth=3
	s_andn2_saveexec_b64 s[64:65], s[64:65]
	s_cbranch_execz .LBB0_123
; %bb.122:                              ;   in Loop: Header=BB0_118 Depth=3
	v_mov_b32_e32 v22, s45
	ds_read_b32 v22, v22
	s_waitcnt lgkmcnt(0)
	v_add_f32_e32 v17, v17, v22
.LBB0_123:                              ;   in Loop: Header=BB0_118 Depth=3
	s_or_b64 exec, exec, s[64:65]
	v_cmp_ne_u32_e32 vcc, s52, v16
	s_or_b64 s[62:63], s[62:63], vcc
	s_and_saveexec_b64 s[64:65], s[62:63]
	s_xor_b64 s[62:63], exec, s[64:65]
	s_cbranch_execz .LBB0_126
; %bb.124:                              ;   in Loop: Header=BB0_118 Depth=3
	s_add_i32 s66, s66, 1
	s_cmp_ge_i32 s66, s15
	s_cbranch_scc1 .LBB0_126
; %bb.125:                              ;   in Loop: Header=BB0_118 Depth=3
	s_lshl_b64 s[64:65], s[56:57], 1
	s_and_b32 s64, s64, -4
	v_lshl_add_u64 v[22:23], v[20:21], 0, s[64:65]
	global_load_dword v22, v[22:23], off
	v_mov_b32_e32 v23, s45
	ds_read_b32 v23, v23 offset:4
	s_waitcnt vmcnt(0) lgkmcnt(0)
	v_fmac_f32_e32 v17, v22, v23
.LBB0_126:                              ;   in Loop: Header=BB0_118 Depth=3
	s_andn2_saveexec_b64 s[62:63], s[62:63]
	s_cbranch_execz .LBB0_128
; %bb.127:                              ;   in Loop: Header=BB0_118 Depth=3
	v_mov_b32_e32 v22, s45
	ds_read_b32 v22, v22 offset:4
	s_waitcnt lgkmcnt(0)
	v_add_f32_e32 v17, v17, v22
.LBB0_128:                              ;   in Loop: Header=BB0_118 Depth=3
	s_or_b64 exec, exec, s[62:63]
	s_add_u32 s52, s52, 2
	s_addc_u32 s53, s53, 0
	s_add_i32 s45, s45, 8
	s_add_u32 s62, s60, -8
	s_addc_u32 s63, s61, -1
	s_add_u32 s56, s56, s60
	s_addc_u32 s57, s57, s61
	s_add_u32 s60, s58, -8
	s_addc_u32 s61, s59, -1
	s_add_u32 s54, s54, s58
	s_addc_u32 s55, s55, s59
	v_lshl_add_u64 v[20:21], v[20:21], 0, -8
	s_cmpk_eq_i32 s52, 0x200
	v_lshl_add_u64 v[18:19], v[18:19], 0, -8
	s_cbranch_scc1 .LBB0_114
; %bb.129:                              ;   in Loop: Header=BB0_118 Depth=3
	s_mov_b64 s[58:59], s[60:61]
	s_mov_b64 s[60:61], s[62:63]
	s_branch .LBB0_118
.LBB0_130:                              ;   in Loop: Header=BB0_98 Depth=1
	s_or_b64 exec, exec, s[46:47]
.LBB0_131:                              ;   in Loop: Header=BB0_98 Depth=1
	s_and_saveexec_b64 s[44:45], s[0:1]
	s_cbranch_execz .LBB0_97
; %bb.132:                              ;   in Loop: Header=BB0_98 Depth=1
	ds_read_b32 v9, v2
	v_mad_u64_u32 v[10:11], s[0:1], s6, v3, 0
	v_mov_b32_e32 v12, v11
	v_mad_u64_u32 v[12:13], s[0:1], s7, v3, v[12:13]
	v_mov_b32_e32 v11, v12
	v_lshl_add_u64 v[10:11], v[10:11], 2, s[12:13]
	s_waitcnt lgkmcnt(0)
	global_store_dword v[10:11], v9, off
	s_branch .LBB0_97
.LBB0_133:
	s_mov_b64 s[0:1], 0
.LBB0_134:
	s_andn2_b64 vcc, exec, s[0:1]
	s_cbranch_vccnz .LBB0_180
; %bb.135:
	s_andn2_b64 vcc, exec, s[16:17]
	s_cbranch_vccnz .LBB0_180
; %bb.136:
	v_mov_b32_e32 v1, 0x1000
	v_mov_b32_e32 v3, 0
	s_movk_i32 s26, 0xfe00
	s_add_i32 s45, s15, 0xfffffe00
	v_lshl_or_b32 v24, v0, 2, v1
	v_add_u32_e32 v25, 0xfffffe01, v0
	s_mov_b32 s33, 0
	s_mov_b32 s44, s15
	v_mov_b32_e32 v1, v3
	s_mov_b64 s[4:5], 0xfffffdfd
	s_mov_b64 s[14:15], 0xfffffdfe
	;; [unrolled: 1-line block ×4, first 2 shown]
	s_xor_b64 s[20:21], s[8:9], -1
	s_mov_b64 s[22:23], 0xfffffe02
	s_mov_b64 s[24:25], 0xfffffe03
	s_mov_b32 s27, -1
	s_branch .LBB0_138
.LBB0_137:                              ;   in Loop: Header=BB0_138 Depth=1
	s_or_b64 exec, exec, s[28:29]
	s_add_u32 s44, s44, 0xfffffe00
	s_addc_u32 s33, s33, -1
	s_and_b64 vcc, exec, s[2:3]
	s_mov_b32 s45, s46
	s_barrier
	s_cbranch_vccnz .LBB0_180
.LBB0_138:                              ; =>This Loop Header: Depth=1
                                        ;     Child Loop BB0_143 Depth 2
                                        ;     Child Loop BB0_158 Depth 2
                                        ;       Child Loop BB0_161 Depth 3
	v_add_u32_e32 v4, s45, v0
	v_cmp_gt_i32_e32 vcc, 0, v4
	v_cmp_lt_i32_e64 s[0:1], -1, v4
	v_mov_b32_e32 v5, v3
	s_and_saveexec_b64 s[2:3], s[0:1]
	s_cbranch_execz .LBB0_140
; %bb.139:                              ;   in Loop: Header=BB0_138 Depth=1
	v_mad_u64_u32 v[6:7], s[28:29], s6, v4, 0
	v_mov_b32_e32 v2, v7
	v_mad_u64_u32 v[8:9], s[28:29], s7, v4, v[2:3]
	v_mov_b32_e32 v7, v8
	v_lshl_add_u64 v[6:7], v[6:7], 2, s[12:13]
	global_load_dword v2, v[6:7], off
	s_waitcnt vmcnt(0)
	ds_write_b32 v24, v2
.LBB0_140:                              ;   in Loop: Header=BB0_138 Depth=1
	s_or_b64 exec, exec, s[2:3]
	v_add_u32_e32 v2, 1, v4
	v_mad_u64_u32 v[8:9], s[2:3], v4, v2, 0
	v_lshlrev_b64 v[8:9], 1, v[8:9]
	v_ashrrev_i32_e32 v7, 31, v4
	v_mov_b32_e32 v6, v4
	v_lshl_add_u64 v[10:11], v[4:5], 2, s[10:11]
	v_and_b32_e32 v8, -4, v8
	s_or_b64 s[2:3], s[8:9], vcc
	v_lshl_add_u64 v[6:7], v[6:7], 2, s[10:11]
	v_lshl_add_u64 v[8:9], v[10:11], 0, v[8:9]
	s_movk_i32 s34, 0x1ff
	s_movk_i32 s35, 0x17f8
	v_mov_b32_e32 v5, s44
	s_xor_b64 s[28:29], s[2:3], -1
	v_mov_b32_e32 v2, v25
	s_waitcnt lgkmcnt(0)
	s_barrier
	s_branch .LBB0_143
.LBB0_141:                              ;   in Loop: Header=BB0_143 Depth=2
	s_or_b64 exec, exec, s[30:31]
	v_mov_b32_e32 v5, v11
.LBB0_142:                              ;   in Loop: Header=BB0_143 Depth=2
	s_or_b64 exec, exec, s[2:3]
	s_add_i32 s34, s34, -2
	s_add_i32 s35, s35, -8
	s_cmp_eq_u32 s36, 0
	v_add_u32_e32 v2, 2, v2
	s_cbranch_scc1 .LBB0_154
.LBB0_143:                              ;   Parent Loop BB0_138 Depth=1
                                        ; =>  This Inner Loop Header: Depth=2
	v_cmp_eq_u32_e32 vcc, 0, v2
	s_and_b64 s[30:31], vcc, s[28:29]
	s_and_saveexec_b64 s[2:3], s[30:31]
	s_cbranch_execz .LBB0_145
; %bb.144:                              ;   in Loop: Header=BB0_143 Depth=2
	global_load_dword v10, v[8:9], off
	ds_read_b32 v11, v24
	s_waitcnt vmcnt(0) lgkmcnt(0)
	v_div_scale_f32 v12, s[30:31], v10, v10, v11
	v_rcp_f32_e32 v13, v12
	v_div_scale_f32 v14, vcc, v11, v10, v11
	v_fma_f32 v15, -v12, v13, 1.0
	v_fmac_f32_e32 v13, v15, v13
	v_mul_f32_e32 v15, v14, v13
	v_fma_f32 v16, -v12, v15, v14
	v_fmac_f32_e32 v15, v16, v13
	v_fma_f32 v12, -v12, v15, v14
	v_div_fmas_f32 v12, v12, v13, v15
	v_div_fixup_f32 v10, v12, v10, v11
	ds_write_b32 v24, v10
.LBB0_145:                              ;   in Loop: Header=BB0_143 Depth=2
	s_or_b64 exec, exec, s[2:3]
	v_add_u32_e32 v10, -1, v5
	v_or_b32_e32 v11, v4, v10
	v_cmp_gt_u32_e32 vcc, s34, v0
	v_cmp_lt_i32_e64 s[2:3], -1, v11
	s_and_b64 s[30:31], vcc, s[2:3]
	s_waitcnt lgkmcnt(0)
	s_barrier
	s_and_saveexec_b64 s[2:3], s[30:31]
	s_cbranch_execz .LBB0_147
; %bb.146:                              ;   in Loop: Header=BB0_143 Depth=2
	v_mad_u64_u32 v[12:13], s[30:31], v5, v10, 0
	v_lshlrev_b64 v[12:13], 1, v[12:13]
	v_and_b32_e32 v12, -4, v12
	v_lshl_add_u64 v[12:13], v[6:7], 0, v[12:13]
	global_load_dword v11, v[12:13], off
	v_mov_b32_e32 v12, s35
	ds_read_b32 v12, v12 offset:4
	ds_read_b32 v13, v24
	s_waitcnt vmcnt(0) lgkmcnt(0)
	v_fma_f32 v11, -v11, v12, v13
	ds_write_b32 v24, v11
.LBB0_147:                              ;   in Loop: Header=BB0_143 Depth=2
	s_or_b64 exec, exec, s[2:3]
	s_add_i32 s36, s34, -1
	v_cmp_eq_u32_e32 vcc, s36, v0
	s_and_b64 s[30:31], vcc, s[28:29]
	s_and_saveexec_b64 s[2:3], s[30:31]
	s_cbranch_execz .LBB0_149
; %bb.148:                              ;   in Loop: Header=BB0_143 Depth=2
	global_load_dword v11, v[8:9], off
	ds_read_b32 v12, v24
	s_waitcnt vmcnt(0) lgkmcnt(0)
	v_div_scale_f32 v13, s[30:31], v11, v11, v12
	v_rcp_f32_e32 v14, v13
	v_div_scale_f32 v15, vcc, v12, v11, v12
	v_fma_f32 v16, -v13, v14, 1.0
	v_fmac_f32_e32 v14, v16, v14
	v_mul_f32_e32 v16, v15, v14
	v_fma_f32 v17, -v13, v16, v15
	v_fmac_f32_e32 v16, v17, v14
	v_fma_f32 v13, -v13, v16, v15
	v_div_fmas_f32 v13, v13, v14, v16
	v_div_fixup_f32 v11, v13, v11, v12
	ds_write_b32 v24, v11
.LBB0_149:                              ;   in Loop: Header=BB0_143 Depth=2
	s_or_b64 exec, exec, s[2:3]
	v_cmp_le_u32_e32 vcc, s36, v0
	v_add_u32_e32 v11, -2, v5
	s_waitcnt lgkmcnt(0)
	s_barrier
	s_and_saveexec_b64 s[2:3], vcc
	s_xor_b64 s[2:3], exec, s[2:3]
; %bb.150:                              ;   in Loop: Header=BB0_143 Depth=2
	v_add_u32_e32 v5, -2, v5
                                        ; implicit-def: $vgpr11
                                        ; implicit-def: $vgpr10
; %bb.151:                              ;   in Loop: Header=BB0_143 Depth=2
	s_andn2_saveexec_b64 s[2:3], s[2:3]
	s_cbranch_execz .LBB0_142
; %bb.152:                              ;   in Loop: Header=BB0_143 Depth=2
	v_or_b32_e32 v5, v4, v11
	v_cmp_lt_i32_e32 vcc, -1, v5
	s_and_saveexec_b64 s[30:31], vcc
	s_cbranch_execz .LBB0_141
; %bb.153:                              ;   in Loop: Header=BB0_143 Depth=2
	v_mad_u64_u32 v[12:13], s[38:39], v10, v11, 0
	v_lshlrev_b64 v[12:13], 1, v[12:13]
	v_and_b32_e32 v12, -4, v12
	v_lshl_add_u64 v[12:13], v[6:7], 0, v[12:13]
	global_load_dword v5, v[12:13], off
	v_mov_b32_e32 v10, s35
	ds_read_b32 v10, v10
	ds_read_b32 v12, v24
	s_waitcnt vmcnt(0) lgkmcnt(0)
	v_fma_f32 v5, -v5, v10, v12
	ds_write_b32 v24, v5
	s_branch .LBB0_141
.LBB0_154:                              ;   in Loop: Header=BB0_138 Depth=1
	s_add_i32 s46, s45, 0xfffffe00
	s_cmp_lt_i32 s45, 1
	s_cselect_b64 s[2:3], -1, 0
	s_and_b64 vcc, exec, s[2:3]
	s_waitcnt lgkmcnt(0)
	s_barrier
	s_cbranch_vccnz .LBB0_178
; %bb.155:                              ;   in Loop: Header=BB0_138 Depth=1
	s_mov_b64 s[28:29], 0
	v_mov_b64_e32 v[6:7], v[0:1]
	s_mov_b32 s47, s46
                                        ; implicit-def: $sgpr30_sgpr31
	s_branch .LBB0_158
.LBB0_156:                              ;   in Loop: Header=BB0_158 Depth=2
	v_mad_u64_u32 v[8:9], s[36:37], s6, v2, 0
	v_mov_b32_e32 v10, v9
	v_mad_u64_u32 v[10:11], s[36:37], s7, v2, v[10:11]
	v_mov_b32_e32 v9, v10
	v_lshl_add_u64 v[8:9], v[8:9], 2, s[12:13]
	global_load_dword v2, v[8:9], off
	s_add_i32 s38, s47, 0xfffffe00
	s_cmp_lt_i32 s47, 1
	s_cselect_b64 s[36:37], -1, 0
	s_andn2_b64 s[30:31], s[30:31], exec
	s_and_b64 s[36:37], s[36:37], exec
	v_lshl_add_u64 v[6:7], v[6:7], 0, s[26:27]
	s_or_b64 s[30:31], s[30:31], s[36:37]
	s_mov_b32 s47, s38
	s_waitcnt vmcnt(0)
	v_sub_f32_e32 v2, v2, v5
	global_store_dword v[8:9], v2, off
.LBB0_157:                              ;   in Loop: Header=BB0_158 Depth=2
	s_or_b64 exec, exec, s[34:35]
	s_and_b64 s[34:35], exec, s[30:31]
	s_or_b64 s[28:29], s[34:35], s[28:29]
	s_andn2_b64 exec, exec, s[28:29]
	s_cbranch_execz .LBB0_177
.LBB0_158:                              ;   Parent Loop BB0_138 Depth=1
                                        ; =>  This Loop Header: Depth=2
                                        ;       Child Loop BB0_161 Depth 3
	v_add_u32_e32 v2, s47, v0
	v_cmp_lt_i32_e32 vcc, -1, v2
	s_or_b64 s[30:31], s[30:31], exec
	s_and_saveexec_b64 s[34:35], vcc
	s_cbranch_execz .LBB0_157
; %bb.159:                              ;   in Loop: Header=BB0_158 Depth=2
	v_lshl_add_u64 v[8:9], v[2:3], 2, s[10:11]
	v_lshl_add_u64 v[10:11], v[6:7], 0, s[4:5]
	;; [unrolled: 1-line block ×5, first 2 shown]
	v_mov_b32_e32 v5, 0
	s_movk_i32 s48, 0x1000
	s_mov_b64 s[36:37], 0
	s_branch .LBB0_161
.LBB0_160:                              ;   in Loop: Header=BB0_161 Depth=3
	s_or_b64 exec, exec, s[38:39]
	s_waitcnt lgkmcnt(0)
	v_add_f32_e32 v5, v5, v11
	s_add_i32 s48, s48, 16
	v_add_f32_e32 v5, v5, v13
	s_add_u32 s36, s36, 4
	v_add_f32_e32 v5, v5, v15
	s_addc_u32 s37, s37, 0
	s_cmpk_eq_i32 s36, 0x200
	v_add_f32_e32 v5, v5, v17
	s_cbranch_scc1 .LBB0_156
.LBB0_161:                              ;   Parent Loop BB0_138 Depth=1
                                        ;     Parent Loop BB0_158 Depth=2
                                        ; =>    This Inner Loop Header: Depth=3
	v_cmp_ne_u32_e32 vcc, s36, v16
	s_or_b64 s[42:43], s[20:21], vcc
                                        ; implicit-def: $vgpr11
                                        ; implicit-def: $sgpr38_sgpr39
                                        ; implicit-def: $sgpr40_sgpr41
	s_and_saveexec_b64 s[50:51], s[42:43]
	s_xor_b64 s[42:43], exec, s[50:51]
	s_cbranch_execz .LBB0_163
; %bb.162:                              ;   in Loop: Header=BB0_161 Depth=3
	s_add_u32 s38, s44, s36
	s_addc_u32 s39, s33, s37
	s_add_u32 s40, s38, 0xfffffe01
	s_addc_u32 s41, s39, 0
	;; [unrolled: 2-line block ×3, first 2 shown]
	s_mul_i32 s50, s40, s50
	s_mul_hi_u32 s51, s40, s49
	s_add_i32 s51, s51, s50
	s_mul_i32 s50, s40, s49
	s_lshl_b64 s[50:51], s[50:51], 1
	s_and_b32 s50, s50, -4
	v_lshl_add_u64 v[18:19], v[8:9], 0, s[50:51]
	global_load_dword v11, v[18:19], off
	v_mov_b32_e32 v13, s48
	ds_read_b32 v13, v13
	s_waitcnt vmcnt(0) lgkmcnt(0)
	v_mul_f32_e32 v11, v11, v13
.LBB0_163:                              ;   in Loop: Header=BB0_161 Depth=3
	s_or_saveexec_b64 s[42:43], s[42:43]
	v_mov_b64_e32 v[22:23], s[40:41]
	v_mov_b64_e32 v[18:19], s[38:39]
	s_xor_b64 exec, exec, s[42:43]
	s_cbranch_execz .LBB0_165
; %bb.164:                              ;   in Loop: Header=BB0_161 Depth=3
	v_mov_b32_e32 v11, s48
	ds_read_b32 v11, v11
	s_add_u32 s38, s44, s36
	s_addc_u32 s39, s33, s37
	s_add_u32 s40, s38, 0xfffffe01
	s_addc_u32 s41, s39, 0
	v_mov_b64_e32 v[22:23], s[40:41]
	v_mov_b64_e32 v[18:19], s[38:39]
.LBB0_165:                              ;   in Loop: Header=BB0_161 Depth=3
	s_or_b64 exec, exec, s[42:43]
	v_cmp_ne_u32_e32 vcc, s36, v14
	s_or_b64 s[38:39], s[20:21], vcc
	v_lshl_add_u64 v[20:21], v[18:19], 0, s[22:23]
                                        ; implicit-def: $vgpr13
	s_and_saveexec_b64 s[40:41], s[38:39]
	s_xor_b64 s[38:39], exec, s[40:41]
	s_cbranch_execz .LBB0_167
; %bb.166:                              ;   in Loop: Header=BB0_161 Depth=3
	v_lshl_add_u64 v[20:21], v[18:19], 0, s[22:23]
	v_mad_u64_u32 v[22:23], s[40:41], v20, v22, 0
	v_lshlrev_b64 v[22:23], 1, v[22:23]
	v_and_b32_e32 v22, -4, v22
	v_lshl_add_u64 v[22:23], v[8:9], 0, v[22:23]
	global_load_dword v13, v[22:23], off
	v_mov_b32_e32 v15, s48
	ds_read_b32 v15, v15 offset:4
	s_waitcnt vmcnt(0) lgkmcnt(0)
	v_mul_f32_e32 v13, v13, v15
.LBB0_167:                              ;   in Loop: Header=BB0_161 Depth=3
	s_andn2_saveexec_b64 s[38:39], s[38:39]
; %bb.168:                              ;   in Loop: Header=BB0_161 Depth=3
	v_mov_b32_e32 v13, s48
	ds_read_b32 v13, v13 offset:4
; %bb.169:                              ;   in Loop: Header=BB0_161 Depth=3
	s_or_b64 exec, exec, s[38:39]
	v_cmp_ne_u32_e32 vcc, s36, v12
	s_or_b64 s[38:39], s[20:21], vcc
	v_lshl_add_u64 v[22:23], v[18:19], 0, s[24:25]
                                        ; implicit-def: $vgpr15
	s_and_saveexec_b64 s[40:41], s[38:39]
	s_xor_b64 s[38:39], exec, s[40:41]
	s_cbranch_execz .LBB0_171
; %bb.170:                              ;   in Loop: Header=BB0_161 Depth=3
	v_lshl_add_u64 v[22:23], v[18:19], 0, s[24:25]
	v_mad_u64_u32 v[20:21], s[40:41], v22, v20, 0
	v_lshlrev_b64 v[20:21], 1, v[20:21]
	v_and_b32_e32 v20, -4, v20
	v_lshl_add_u64 v[20:21], v[8:9], 0, v[20:21]
	global_load_dword v15, v[20:21], off
	v_mov_b32_e32 v17, s48
	ds_read_b32 v17, v17 offset:8
	s_waitcnt vmcnt(0) lgkmcnt(0)
	v_mul_f32_e32 v15, v15, v17
.LBB0_171:                              ;   in Loop: Header=BB0_161 Depth=3
	s_andn2_saveexec_b64 s[38:39], s[38:39]
; %bb.172:                              ;   in Loop: Header=BB0_161 Depth=3
	v_mov_b32_e32 v15, s48
	ds_read_b32 v15, v15 offset:8
; %bb.173:                              ;   in Loop: Header=BB0_161 Depth=3
	s_or_b64 exec, exec, s[38:39]
	v_cmp_ne_u32_e32 vcc, s36, v10
	s_or_b64 s[38:39], s[20:21], vcc
                                        ; implicit-def: $vgpr17
	s_and_saveexec_b64 s[40:41], s[38:39]
	s_xor_b64 s[38:39], exec, s[40:41]
	s_cbranch_execz .LBB0_175
; %bb.174:                              ;   in Loop: Header=BB0_161 Depth=3
	v_add_u32_e32 v17, 0xfffffe04, v18
	v_mad_u64_u32 v[18:19], s[40:41], v17, v22, 0
	v_lshlrev_b64 v[18:19], 1, v[18:19]
	v_and_b32_e32 v18, -4, v18
	v_lshl_add_u64 v[18:19], v[8:9], 0, v[18:19]
	global_load_dword v17, v[18:19], off
	v_mov_b32_e32 v18, s48
	ds_read_b32 v18, v18 offset:12
	s_waitcnt vmcnt(0) lgkmcnt(0)
	v_mul_f32_e32 v17, v17, v18
.LBB0_175:                              ;   in Loop: Header=BB0_161 Depth=3
	s_andn2_saveexec_b64 s[38:39], s[38:39]
	s_cbranch_execz .LBB0_160
; %bb.176:                              ;   in Loop: Header=BB0_161 Depth=3
	v_mov_b32_e32 v17, s48
	ds_read_b32 v17, v17 offset:12
	s_branch .LBB0_160
.LBB0_177:                              ;   in Loop: Header=BB0_138 Depth=1
	s_or_b64 exec, exec, s[28:29]
.LBB0_178:                              ;   in Loop: Header=BB0_138 Depth=1
	s_and_saveexec_b64 s[28:29], s[0:1]
	s_cbranch_execz .LBB0_137
; %bb.179:                              ;   in Loop: Header=BB0_138 Depth=1
	ds_read_b32 v8, v24
	v_mad_u64_u32 v[6:7], s[0:1], s6, v4, 0
	v_mov_b32_e32 v2, v7
	v_mad_u64_u32 v[4:5], s[0:1], s7, v4, v[2:3]
	v_mov_b32_e32 v7, v4
	v_lshl_add_u64 v[4:5], v[6:7], 2, s[12:13]
	s_waitcnt lgkmcnt(0)
	global_store_dword v[4:5], v8, off
	s_branch .LBB0_137
.LBB0_180:
	s_endpgm
	.section	.rodata,"a",@progbits
	.p2align	6, 0x0
	.amdhsa_kernel _ZL19rocblas_tpsv_kernelILb1ELi512EPKfPfEv18rocblas_operation_bbiT1_llT2_lll
		.amdhsa_group_segment_fixed_size 8192
		.amdhsa_private_segment_fixed_size 0
		.amdhsa_kernarg_size 72
		.amdhsa_user_sgpr_count 2
		.amdhsa_user_sgpr_dispatch_ptr 0
		.amdhsa_user_sgpr_queue_ptr 0
		.amdhsa_user_sgpr_kernarg_segment_ptr 1
		.amdhsa_user_sgpr_dispatch_id 0
		.amdhsa_user_sgpr_kernarg_preload_length 0
		.amdhsa_user_sgpr_kernarg_preload_offset 0
		.amdhsa_user_sgpr_private_segment_size 0
		.amdhsa_uses_dynamic_stack 0
		.amdhsa_enable_private_segment 0
		.amdhsa_system_sgpr_workgroup_id_x 1
		.amdhsa_system_sgpr_workgroup_id_y 0
		.amdhsa_system_sgpr_workgroup_id_z 0
		.amdhsa_system_sgpr_workgroup_info 0
		.amdhsa_system_vgpr_workitem_id 0
		.amdhsa_next_free_vgpr 26
		.amdhsa_next_free_sgpr 70
		.amdhsa_accum_offset 28
		.amdhsa_reserve_vcc 1
		.amdhsa_float_round_mode_32 0
		.amdhsa_float_round_mode_16_64 0
		.amdhsa_float_denorm_mode_32 3
		.amdhsa_float_denorm_mode_16_64 3
		.amdhsa_dx10_clamp 1
		.amdhsa_ieee_mode 1
		.amdhsa_fp16_overflow 0
		.amdhsa_tg_split 0
		.amdhsa_exception_fp_ieee_invalid_op 0
		.amdhsa_exception_fp_denorm_src 0
		.amdhsa_exception_fp_ieee_div_zero 0
		.amdhsa_exception_fp_ieee_overflow 0
		.amdhsa_exception_fp_ieee_underflow 0
		.amdhsa_exception_fp_ieee_inexact 0
		.amdhsa_exception_int_div_zero 0
	.end_amdhsa_kernel
	.section	.text._ZL19rocblas_tpsv_kernelILb1ELi512EPKfPfEv18rocblas_operation_bbiT1_llT2_lll,"axG",@progbits,_ZL19rocblas_tpsv_kernelILb1ELi512EPKfPfEv18rocblas_operation_bbiT1_llT2_lll,comdat
.Lfunc_end0:
	.size	_ZL19rocblas_tpsv_kernelILb1ELi512EPKfPfEv18rocblas_operation_bbiT1_llT2_lll, .Lfunc_end0-_ZL19rocblas_tpsv_kernelILb1ELi512EPKfPfEv18rocblas_operation_bbiT1_llT2_lll
                                        ; -- End function
	.set _ZL19rocblas_tpsv_kernelILb1ELi512EPKfPfEv18rocblas_operation_bbiT1_llT2_lll.num_vgpr, 26
	.set _ZL19rocblas_tpsv_kernelILb1ELi512EPKfPfEv18rocblas_operation_bbiT1_llT2_lll.num_agpr, 0
	.set _ZL19rocblas_tpsv_kernelILb1ELi512EPKfPfEv18rocblas_operation_bbiT1_llT2_lll.numbered_sgpr, 70
	.set _ZL19rocblas_tpsv_kernelILb1ELi512EPKfPfEv18rocblas_operation_bbiT1_llT2_lll.num_named_barrier, 0
	.set _ZL19rocblas_tpsv_kernelILb1ELi512EPKfPfEv18rocblas_operation_bbiT1_llT2_lll.private_seg_size, 0
	.set _ZL19rocblas_tpsv_kernelILb1ELi512EPKfPfEv18rocblas_operation_bbiT1_llT2_lll.uses_vcc, 1
	.set _ZL19rocblas_tpsv_kernelILb1ELi512EPKfPfEv18rocblas_operation_bbiT1_llT2_lll.uses_flat_scratch, 0
	.set _ZL19rocblas_tpsv_kernelILb1ELi512EPKfPfEv18rocblas_operation_bbiT1_llT2_lll.has_dyn_sized_stack, 0
	.set _ZL19rocblas_tpsv_kernelILb1ELi512EPKfPfEv18rocblas_operation_bbiT1_llT2_lll.has_recursion, 0
	.set _ZL19rocblas_tpsv_kernelILb1ELi512EPKfPfEv18rocblas_operation_bbiT1_llT2_lll.has_indirect_call, 0
	.section	.AMDGPU.csdata,"",@progbits
; Kernel info:
; codeLenInByte = 6836
; TotalNumSgprs: 76
; NumVgprs: 26
; NumAgprs: 0
; TotalNumVgprs: 26
; ScratchSize: 0
; MemoryBound: 0
; FloatMode: 240
; IeeeMode: 1
; LDSByteSize: 8192 bytes/workgroup (compile time only)
; SGPRBlocks: 9
; VGPRBlocks: 3
; NumSGPRsForWavesPerEU: 76
; NumVGPRsForWavesPerEU: 26
; AccumOffset: 28
; Occupancy: 8
; WaveLimiterHint : 0
; COMPUTE_PGM_RSRC2:SCRATCH_EN: 0
; COMPUTE_PGM_RSRC2:USER_SGPR: 2
; COMPUTE_PGM_RSRC2:TRAP_HANDLER: 0
; COMPUTE_PGM_RSRC2:TGID_X_EN: 1
; COMPUTE_PGM_RSRC2:TGID_Y_EN: 0
; COMPUTE_PGM_RSRC2:TGID_Z_EN: 0
; COMPUTE_PGM_RSRC2:TIDIG_COMP_CNT: 0
; COMPUTE_PGM_RSRC3_GFX90A:ACCUM_OFFSET: 6
; COMPUTE_PGM_RSRC3_GFX90A:TG_SPLIT: 0
	.section	.text._ZL19rocblas_tpsv_kernelILb0ELi512EPKfPfEv18rocblas_operation_bbiT1_llT2_lll,"axG",@progbits,_ZL19rocblas_tpsv_kernelILb0ELi512EPKfPfEv18rocblas_operation_bbiT1_llT2_lll,comdat
	.globl	_ZL19rocblas_tpsv_kernelILb0ELi512EPKfPfEv18rocblas_operation_bbiT1_llT2_lll ; -- Begin function _ZL19rocblas_tpsv_kernelILb0ELi512EPKfPfEv18rocblas_operation_bbiT1_llT2_lll
	.p2align	8
	.type	_ZL19rocblas_tpsv_kernelILb0ELi512EPKfPfEv18rocblas_operation_bbiT1_llT2_lll,@function
_ZL19rocblas_tpsv_kernelILb0ELi512EPKfPfEv18rocblas_operation_bbiT1_llT2_lll: ; @_ZL19rocblas_tpsv_kernelILb0ELi512EPKfPfEv18rocblas_operation_bbiT1_llT2_lll
; %bb.0:
	s_load_dwordx2 s[28:29], s[0:1], 0x0
	s_load_dwordx2 s[14:15], s[0:1], 0x4
	s_load_dwordx2 s[18:19], s[0:1], 0x10
	s_load_dwordx4 s[24:27], s[0:1], 0x18
	s_load_dwordx2 s[12:13], s[0:1], 0x28
	s_waitcnt lgkmcnt(0)
	s_bitcmp1_b32 s29, 0
	s_cselect_b64 s[4:5], -1, 0
	s_xor_b64 s[22:23], s[4:5], -1
	s_bitcmp1_b32 s14, 8
	s_load_dwordx4 s[4:7], s[0:1], 0x30
	s_load_dwordx2 s[16:17], s[0:1], 0x40
	s_mul_i32 s0, s27, s2
	s_mul_hi_u32 s1, s26, s2
	s_cselect_b64 s[8:9], -1, 0
	s_add_i32 s1, s1, s0
	s_mul_i32 s0, s26, s2
	s_lshl_b64 s[20:21], s[0:1], 2
	s_add_u32 s0, s18, s20
	s_addc_u32 s1, s19, s21
	s_lshl_b64 s[24:25], s[24:25], 2
	s_add_u32 s10, s0, s24
	s_addc_u32 s11, s1, s25
	s_waitcnt lgkmcnt(0)
	s_mul_i32 s0, s17, s2
	s_mul_hi_u32 s1, s16, s2
	s_add_i32 s1, s1, s0
	s_mul_i32 s0, s16, s2
	s_lshl_b64 s[0:1], s[0:1], 2
	s_add_u32 s2, s12, s0
	s_addc_u32 s3, s13, s1
	s_lshl_b64 s[0:1], s[4:5], 2
	s_add_u32 s12, s2, s0
	s_addc_u32 s13, s3, s1
	s_cmp_gt_i32 s15, 0
	s_cselect_b64 s[16:17], -1, 0
	s_cmpk_lg_i32 s28, 0x6f
	s_mov_b64 s[0:1], -1
	s_cbranch_scc0 .LBB1_93
; %bb.1:
	s_and_b64 vcc, exec, s[22:23]
	s_cbranch_vccz .LBB1_44
; %bb.2:
	s_andn2_b64 vcc, exec, s[16:17]
	s_cbranch_vccnz .LBB1_43
; %bb.3:
	s_lshl_b32 s2, s15, 1
	s_add_i32 s36, s15, 0xfffffe00
	s_or_b32 s14, s2, 1
	s_add_u32 s3, s20, s24
	s_addc_u32 s4, s21, s25
	s_ashr_i32 s1, s15, 31
	s_mov_b32 s0, s15
	s_lshl_b64 s[0:1], s[0:1], 2
	s_add_u32 s0, s3, s0
	s_addc_u32 s1, s4, s1
	s_add_u32 s0, s18, s0
	s_addc_u32 s1, s19, s1
	v_mov_b32_e32 v1, 0x800
	s_add_u32 s4, s0, 0xfffff800
	v_add_u32_e32 v2, s15, v0
	v_lshl_or_b32 v1, v0, 2, v1
	v_xor_b32_e32 v10, 0x1ff, v0
	s_addc_u32 s5, s1, -1
	v_add_u32_e32 v11, 0xfffffc00, v2
	s_ashr_i32 s33, s2, 31
	v_mov_b32_e32 v3, 0
	s_movk_i32 s42, 0x400
	s_movk_i32 s43, 0x401
	;; [unrolled: 1-line block ×4, first 2 shown]
	s_mov_b64 s[26:27], 0x800
	s_mov_b64 s[28:29], 0x200
	s_branch .LBB1_5
.LBB1_4:                                ;   in Loop: Header=BB1_5 Depth=1
	s_or_b64 exec, exec, s[30:31]
	s_add_u32 s4, s4, 0xfffff800
	s_addc_u32 s5, s5, -1
	v_add_u32_e32 v11, 0xfffffe00, v11
	s_andn2_b64 vcc, exec, s[2:3]
	s_mov_b32 s36, s46
	s_barrier
	s_cbranch_vccz .LBB1_43
.LBB1_5:                                ; =>This Loop Header: Depth=1
                                        ;     Child Loop BB1_9 Depth 2
                                        ;     Child Loop BB1_21 Depth 2
                                        ;       Child Loop BB1_24 Depth 3
	v_add_u32_e32 v12, s36, v0
	v_cmp_gt_i32_e64 s[2:3], 0, v12
	v_cmp_lt_i32_e64 s[0:1], -1, v12
	s_and_saveexec_b64 s[30:31], s[0:1]
	s_cbranch_execz .LBB1_7
; %bb.6:                                ;   in Loop: Header=BB1_5 Depth=1
	v_mad_u64_u32 v[4:5], s[34:35], s6, v12, 0
	v_mov_b32_e32 v2, v5
	v_mad_u64_u32 v[6:7], s[34:35], s7, v12, v[2:3]
	v_mov_b32_e32 v5, v6
	v_lshl_add_u64 v[4:5], v[4:5], 2, s[12:13]
	global_load_dword v2, v[4:5], off
	s_waitcnt vmcnt(0)
	ds_write_b32 v1, v2
.LBB1_7:                                ;   in Loop: Header=BB1_5 Depth=1
	s_or_b64 exec, exec, s[30:31]
	v_sub_u32_e32 v2, s14, v12
	v_mad_u64_u32 v[4:5], s[30:31], v12, v2, 0
	v_ashrrev_i32_e32 v6, 31, v2
	v_mov_b32_e32 v2, v5
	v_mad_u64_u32 v[6:7], s[30:31], v12, v6, v[2:3]
	v_mov_b32_e32 v5, v6
	v_lshlrev_b64 v[4:5], 1, v[4:5]
	v_and_b32_e32 v4, -4, v4
	s_or_b64 s[30:31], s[8:9], s[2:3]
	s_not_b32 s37, s36
	v_lshl_add_u64 v[4:5], s[10:11], 0, v[4:5]
	s_movk_i32 s38, 0x1ff
	s_movk_i32 s39, 0xff8
	s_xor_b64 s[30:31], s[30:31], -1
	v_mov_b32_e32 v2, v10
	s_waitcnt lgkmcnt(0)
	s_barrier
	s_branch .LBB1_9
.LBB1_8:                                ;   in Loop: Header=BB1_9 Depth=2
	s_or_b64 exec, exec, s[34:35]
	s_add_i32 s38, s38, -2
	s_add_i32 s39, s39, -8
	s_cmp_eq_u32 s40, 0
	v_add_u32_e32 v2, -2, v2
	s_cbranch_scc1 .LBB1_17
.LBB1_9:                                ;   Parent Loop BB1_5 Depth=1
                                        ; =>  This Inner Loop Header: Depth=2
	v_cmp_eq_u32_e32 vcc, 0, v2
	s_and_b64 s[40:41], vcc, s[30:31]
	s_and_saveexec_b64 s[34:35], s[40:41]
	s_cbranch_execz .LBB1_11
; %bb.10:                               ;   in Loop: Header=BB1_9 Depth=2
	global_load_dword v6, v[4:5], off
	ds_read_b32 v7, v1
	s_waitcnt vmcnt(0) lgkmcnt(0)
	v_div_scale_f32 v8, s[40:41], v6, v6, v7
	v_rcp_f32_e32 v9, v8
	v_div_scale_f32 v13, vcc, v7, v6, v7
	v_fma_f32 v14, -v8, v9, 1.0
	v_fmac_f32_e32 v9, v14, v9
	v_mul_f32_e32 v14, v13, v9
	v_fma_f32 v15, -v8, v14, v13
	v_fmac_f32_e32 v14, v15, v9
	v_fma_f32 v8, -v8, v14, v13
	v_div_fmas_f32 v8, v8, v9, v14
	v_div_fixup_f32 v6, v8, v6, v7
	ds_write_b32 v1, v6
.LBB1_11:                               ;   in Loop: Header=BB1_9 Depth=2
	s_or_b64 exec, exec, s[34:35]
	s_cmp_le_i32 s38, s37
	v_cmp_le_u32_e32 vcc, s38, v0
	s_cselect_b64 s[34:35], -1, 0
	s_or_b64 s[34:35], vcc, s[34:35]
	s_nor_b64 s[40:41], s[2:3], s[34:35]
	s_waitcnt lgkmcnt(0)
	s_barrier
	s_and_saveexec_b64 s[34:35], s[40:41]
	s_cbranch_execz .LBB1_13
; %bb.12:                               ;   in Loop: Header=BB1_9 Depth=2
	v_lshl_add_u64 v[6:7], v[2:3], 2, v[4:5]
	global_load_dword v6, v[6:7], off
	v_mov_b32_e32 v7, s39
	ds_read_b32 v7, v7 offset:4
	ds_read_b32 v8, v1
	s_waitcnt vmcnt(0) lgkmcnt(0)
	v_fma_f32 v6, -v6, v7, v8
	ds_write_b32 v1, v6
.LBB1_13:                               ;   in Loop: Header=BB1_9 Depth=2
	s_or_b64 exec, exec, s[34:35]
	s_add_i32 s40, s38, -1
	v_cmp_eq_u32_e32 vcc, s40, v0
	s_and_b64 s[46:47], vcc, s[30:31]
	s_and_saveexec_b64 s[34:35], s[46:47]
	s_cbranch_execz .LBB1_15
; %bb.14:                               ;   in Loop: Header=BB1_9 Depth=2
	global_load_dword v6, v[4:5], off
	ds_read_b32 v7, v1
	s_waitcnt vmcnt(0) lgkmcnt(0)
	v_div_scale_f32 v8, s[46:47], v6, v6, v7
	v_rcp_f32_e32 v9, v8
	v_div_scale_f32 v13, vcc, v7, v6, v7
	v_fma_f32 v14, -v8, v9, 1.0
	v_fmac_f32_e32 v9, v14, v9
	v_mul_f32_e32 v14, v13, v9
	v_fma_f32 v15, -v8, v14, v13
	v_fmac_f32_e32 v14, v15, v9
	v_fma_f32 v8, -v8, v14, v13
	v_div_fmas_f32 v8, v8, v9, v14
	v_div_fixup_f32 v6, v8, v6, v7
	ds_write_b32 v1, v6
.LBB1_15:                               ;   in Loop: Header=BB1_9 Depth=2
	s_or_b64 exec, exec, s[34:35]
	s_cmp_le_i32 s40, s37
	v_cmp_le_u32_e32 vcc, s40, v0
	s_cselect_b64 s[34:35], -1, 0
	s_or_b64 s[34:35], vcc, s[34:35]
	s_nor_b64 s[46:47], s[2:3], s[34:35]
	s_waitcnt lgkmcnt(0)
	s_barrier
	s_and_saveexec_b64 s[34:35], s[46:47]
	s_cbranch_execz .LBB1_8
; %bb.16:                               ;   in Loop: Header=BB1_9 Depth=2
	v_add_u32_e32 v6, -1, v2
	v_mov_b32_e32 v7, v3
	v_lshl_add_u64 v[6:7], v[6:7], 2, v[4:5]
	global_load_dword v6, v[6:7], off
	v_mov_b32_e32 v7, s39
	ds_read_b32 v7, v7
	ds_read_b32 v8, v1
	s_waitcnt vmcnt(0) lgkmcnt(0)
	v_fma_f32 v6, -v6, v7, v8
	ds_write_b32 v1, v6
	s_branch .LBB1_8
.LBB1_17:                               ;   in Loop: Header=BB1_5 Depth=1
	s_add_i32 s46, s36, 0xfffffe00
	s_cmp_lt_i32 s36, 1
	s_cselect_b64 s[2:3], -1, 0
	s_and_b64 vcc, exec, s[2:3]
	s_waitcnt lgkmcnt(0)
	s_barrier
	s_cbranch_vccnz .LBB1_41
; %bb.18:                               ;   in Loop: Header=BB1_5 Depth=1
	v_ashrrev_i32_e32 v2, 31, v11
	v_mad_i64_i32 v[4:5], s[30:31], v11, -4, s[4:5]
	v_mov_b32_e32 v7, s33
	v_sub_co_u32_e32 v6, vcc, s14, v11
	s_mov_b64 s[30:31], 0
	s_nop 0
	v_subb_co_u32_e32 v7, vcc, v7, v2, vcc
	v_mov_b32_e32 v2, v11
	v_mov_b32_e32 v13, v0
	s_mov_b32 s47, s46
                                        ; implicit-def: $sgpr34_sgpr35
	s_branch .LBB1_21
.LBB1_19:                               ;   in Loop: Header=BB1_21 Depth=2
	v_mad_u64_u32 v[8:9], s[38:39], s6, v14, 0
	v_mov_b32_e32 v16, v9
	v_mad_u64_u32 v[16:17], s[38:39], s7, v14, v[16:17]
	v_mov_b32_e32 v9, v16
	v_lshl_add_u64 v[8:9], v[8:9], 2, s[12:13]
	global_load_dword v14, v[8:9], off
	s_add_i32 s40, s47, 0xfffffe00
	s_cmp_lt_i32 s47, 1
	s_cselect_b64 s[38:39], -1, 0
	s_andn2_b64 s[34:35], s[34:35], exec
	s_and_b64 s[38:39], s[38:39], exec
	v_add_u32_e32 v13, 0xfffffe00, v13
	v_lshl_add_u64 v[4:5], v[4:5], 0, s[26:27]
	v_lshl_add_u64 v[6:7], v[6:7], 0, s[28:29]
	v_add_u32_e32 v2, 0xfffffe00, v2
	s_or_b64 s[34:35], s[34:35], s[38:39]
	s_mov_b32 s47, s40
	s_waitcnt vmcnt(0)
	v_sub_f32_e32 v14, v14, v15
	global_store_dword v[8:9], v14, off
.LBB1_20:                               ;   in Loop: Header=BB1_21 Depth=2
	s_or_b64 exec, exec, s[36:37]
	s_and_b64 s[36:37], exec, s[34:35]
	s_or_b64 s[30:31], s[36:37], s[30:31]
	s_andn2_b64 exec, exec, s[30:31]
	s_cbranch_execz .LBB1_40
.LBB1_21:                               ;   Parent Loop BB1_5 Depth=1
                                        ; =>  This Loop Header: Depth=2
                                        ;       Child Loop BB1_24 Depth 3
	v_add_u32_e32 v14, s47, v0
	v_cmp_lt_i32_e32 vcc, -1, v14
	s_or_b64 s[34:35], s[34:35], exec
	s_and_saveexec_b64 s[36:37], vcc
	s_cbranch_execz .LBB1_20
; %bb.22:                               ;   in Loop: Header=BB1_21 Depth=2
	v_mad_u64_u32 v[8:9], s[38:39], v6, v2, 0
	v_mov_b32_e32 v16, v9
	v_mad_u64_u32 v[16:17], s[38:39], v7, v2, v[16:17]
	v_mov_b32_e32 v9, v16
	v_lshlrev_b64 v[8:9], 1, v[8:9]
	v_and_b32_e32 v8, -4, v8
	v_lshl_add_u64 v[8:9], v[4:5], 0, v[8:9]
	v_mov_b32_e32 v15, 0
	s_movk_i32 s48, 0x800
	s_movk_i32 s49, 0x200
	s_branch .LBB1_24
.LBB1_23:                               ;   in Loop: Header=BB1_24 Depth=3
	s_or_b64 exec, exec, s[38:39]
	s_waitcnt lgkmcnt(0)
	v_add_f32_e32 v15, v15, v16
	v_add_f32_e32 v15, v15, v18
	v_add_f32_e32 v15, v15, v19
	s_add_i32 s48, s48, 16
	s_add_i32 s49, s49, -4
	v_add_f32_e32 v15, v15, v17
	s_cmp_eq_u32 s49, 0
	v_lshl_add_u64 v[8:9], v[8:9], 0, 16
	s_cbranch_scc1 .LBB1_19
.LBB1_24:                               ;   Parent Loop BB1_5 Depth=1
                                        ;     Parent Loop BB1_21 Depth=2
                                        ; =>    This Inner Loop Header: Depth=3
	v_add_u32_e32 v17, s49, v13
	v_cmp_ne_u32_e32 vcc, s42, v17
	s_xor_b64 s[38:39], s[8:9], -1
	s_or_b64 s[40:41], s[38:39], vcc
                                        ; implicit-def: $vgpr16
	s_and_saveexec_b64 s[50:51], s[40:41]
	s_xor_b64 s[40:41], exec, s[50:51]
	s_cbranch_execz .LBB1_26
; %bb.25:                               ;   in Loop: Header=BB1_24 Depth=3
	global_load_dword v16, v[8:9], off
	v_mov_b32_e32 v18, s48
	ds_read_b32 v18, v18
	s_waitcnt vmcnt(0) lgkmcnt(0)
	v_mul_f32_e32 v16, v16, v18
.LBB1_26:                               ;   in Loop: Header=BB1_24 Depth=3
	s_andn2_saveexec_b64 s[40:41], s[40:41]
; %bb.27:                               ;   in Loop: Header=BB1_24 Depth=3
	v_mov_b32_e32 v16, s48
	ds_read_b32 v16, v16
; %bb.28:                               ;   in Loop: Header=BB1_24 Depth=3
	s_or_b64 exec, exec, s[40:41]
	v_cmp_ne_u32_e32 vcc, s43, v17
	s_or_b64 s[40:41], s[38:39], vcc
                                        ; implicit-def: $vgpr18
	s_and_saveexec_b64 s[50:51], s[40:41]
	s_xor_b64 s[40:41], exec, s[50:51]
	s_cbranch_execz .LBB1_30
; %bb.29:                               ;   in Loop: Header=BB1_24 Depth=3
	global_load_dword v18, v[8:9], off offset:4
	v_mov_b32_e32 v19, s48
	ds_read_b32 v19, v19 offset:4
	s_waitcnt vmcnt(0) lgkmcnt(0)
	v_mul_f32_e32 v18, v18, v19
.LBB1_30:                               ;   in Loop: Header=BB1_24 Depth=3
	s_andn2_saveexec_b64 s[40:41], s[40:41]
; %bb.31:                               ;   in Loop: Header=BB1_24 Depth=3
	v_mov_b32_e32 v18, s48
	ds_read_b32 v18, v18 offset:4
; %bb.32:                               ;   in Loop: Header=BB1_24 Depth=3
	s_or_b64 exec, exec, s[40:41]
	v_cmp_ne_u32_e32 vcc, s44, v17
	s_or_b64 s[40:41], s[38:39], vcc
                                        ; implicit-def: $vgpr19
	s_and_saveexec_b64 s[50:51], s[40:41]
	s_xor_b64 s[40:41], exec, s[50:51]
	s_cbranch_execz .LBB1_34
; %bb.33:                               ;   in Loop: Header=BB1_24 Depth=3
	global_load_dword v19, v[8:9], off offset:8
	v_mov_b32_e32 v20, s48
	ds_read_b32 v20, v20 offset:8
	s_waitcnt vmcnt(0) lgkmcnt(0)
	v_mul_f32_e32 v19, v19, v20
.LBB1_34:                               ;   in Loop: Header=BB1_24 Depth=3
	s_andn2_saveexec_b64 s[40:41], s[40:41]
; %bb.35:                               ;   in Loop: Header=BB1_24 Depth=3
	v_mov_b32_e32 v19, s48
	ds_read_b32 v19, v19 offset:8
; %bb.36:                               ;   in Loop: Header=BB1_24 Depth=3
	s_or_b64 exec, exec, s[40:41]
	v_cmp_ne_u32_e32 vcc, s45, v17
	s_or_b64 s[38:39], s[38:39], vcc
                                        ; implicit-def: $vgpr17
	s_and_saveexec_b64 s[40:41], s[38:39]
	s_xor_b64 s[38:39], exec, s[40:41]
	s_cbranch_execz .LBB1_38
; %bb.37:                               ;   in Loop: Header=BB1_24 Depth=3
	global_load_dword v17, v[8:9], off offset:12
	v_mov_b32_e32 v20, s48
	ds_read_b32 v20, v20 offset:12
	s_waitcnt vmcnt(0) lgkmcnt(0)
	v_mul_f32_e32 v17, v17, v20
.LBB1_38:                               ;   in Loop: Header=BB1_24 Depth=3
	s_andn2_saveexec_b64 s[38:39], s[38:39]
	s_cbranch_execz .LBB1_23
; %bb.39:                               ;   in Loop: Header=BB1_24 Depth=3
	v_mov_b32_e32 v17, s48
	ds_read_b32 v17, v17 offset:12
	s_branch .LBB1_23
.LBB1_40:                               ;   in Loop: Header=BB1_5 Depth=1
	s_or_b64 exec, exec, s[30:31]
.LBB1_41:                               ;   in Loop: Header=BB1_5 Depth=1
	s_and_saveexec_b64 s[30:31], s[0:1]
	s_cbranch_execz .LBB1_4
; %bb.42:                               ;   in Loop: Header=BB1_5 Depth=1
	ds_read_b32 v8, v1
	v_mad_u64_u32 v[4:5], s[0:1], s6, v12, 0
	v_mov_b32_e32 v2, v5
	v_mad_u64_u32 v[6:7], s[0:1], s7, v12, v[2:3]
	v_mov_b32_e32 v5, v6
	v_lshl_add_u64 v[4:5], v[4:5], 2, s[12:13]
	s_waitcnt lgkmcnt(0)
	global_store_dword v[4:5], v8, off
	s_branch .LBB1_4
.LBB1_43:
	s_mov_b64 s[0:1], 0
.LBB1_44:
	s_andn2_b64 vcc, exec, s[0:1]
	s_cbranch_vccnz .LBB1_92
; %bb.45:
	s_andn2_b64 vcc, exec, s[16:17]
	s_cbranch_vccnz .LBB1_92
; %bb.46:
	v_mov_b32_e32 v3, 0
	v_mov_b32_e32 v1, v3
	v_mad_u64_u32 v[4:5], s[0:1], v0, v0, v[0:1]
	v_lshlrev_b32_e32 v2, 10, v0
	s_mov_b64 s[0:1], 0x40200
	v_lshl_add_u64 v[6:7], v[2:3], 0, s[0:1]
	v_or_b32_e32 v2, 0x200, v0
	v_lshlrev_b32_e32 v14, 2, v0
	s_mov_b32 s14, 0
	v_add_u32_e32 v1, 0x201, v0
	s_xor_b64 s[4:5], s[8:9], -1
	s_mov_b64 s[26:27], 0x200
	s_mov_b64 s[28:29], 0x80000
	v_mov_b64_e32 v[8:9], v[2:3]
	s_mov_b64 s[30:31], s[10:11]
	s_branch .LBB1_48
.LBB1_47:                               ;   in Loop: Header=BB1_48 Depth=1
	s_or_b64 exec, exec, s[34:35]
	s_add_u32 s30, s30, 0x800
	v_lshl_add_u64 v[10:11], v[6:7], 0, s[28:29]
	s_addc_u32 s31, s31, 0
	v_lshl_add_u64 v[4:5], v[4:5], 0, v[6:7]
	v_lshl_add_u64 v[8:9], v[8:9], 0, s[26:27]
	v_add_u32_e32 v1, 0x200, v1
	s_and_b64 vcc, exec, s[2:3]
	v_mov_b64_e32 v[6:7], v[10:11]
	s_mov_b32 s14, s33
	s_barrier
	s_cbranch_vccnz .LBB1_92
.LBB1_48:                               ; =>This Loop Header: Depth=1
                                        ;     Child Loop BB1_52 Depth 2
                                        ;     Child Loop BB1_66 Depth 2
                                        ;       Child Loop BB1_69 Depth 3
	v_add_u32_e32 v15, s14, v0
	v_cmp_le_i32_e32 vcc, s15, v15
	v_cmp_gt_i32_e64 s[0:1], s15, v15
	s_and_saveexec_b64 s[2:3], s[0:1]
	s_cbranch_execz .LBB1_50
; %bb.49:                               ;   in Loop: Header=BB1_48 Depth=1
	v_mad_u64_u32 v[10:11], s[34:35], s6, v15, 0
	v_mov_b32_e32 v2, v11
	v_mad_u64_u32 v[12:13], s[34:35], s7, v15, v[2:3]
	v_mov_b32_e32 v11, v12
	v_lshl_add_u64 v[10:11], v[10:11], 2, s[12:13]
	global_load_dword v2, v[10:11], off
	s_waitcnt vmcnt(0)
	ds_write_b32 v14, v2
.LBB1_50:                               ;   in Loop: Header=BB1_48 Depth=1
	s_or_b64 exec, exec, s[2:3]
	v_or_b32_e32 v2, s14, v0
	v_add_u32_e32 v12, 1, v2
	v_mad_u64_u32 v[12:13], s[34:35], v12, v2, 0
	v_lshlrev_b64 v[10:11], 1, v[4:5]
	v_lshlrev_b64 v[12:13], 1, v[12:13]
	v_and_b32_e32 v10, -4, v10
	v_lshl_add_u64 v[16:17], v[2:3], 2, s[10:11]
	v_and_b32_e32 v12, -4, v12
	v_lshl_add_u64 v[10:11], s[30:31], 0, v[10:11]
	v_cmp_le_i32_e64 s[2:3], s15, v2
	v_lshl_add_u64 v[12:13], v[16:17], 0, v[12:13]
	s_mov_b32 s33, 0
	s_xor_b64 s[34:35], vcc, -1
	s_mov_b32 s38, 0
	s_waitcnt lgkmcnt(0)
	s_barrier
	s_branch .LBB1_52
.LBB1_51:                               ;   in Loop: Header=BB1_52 Depth=2
	s_or_b64 exec, exec, s[36:37]
	s_add_i32 s33, s33, 8
	s_add_i32 s38, s39, 1
	s_cmpk_eq_i32 s38, 0x200
	v_lshl_add_u64 v[10:11], v[10:11], 0, 8
	s_cbranch_scc1 .LBB1_62
.LBB1_52:                               ;   Parent Loop BB1_48 Depth=1
                                        ; =>  This Inner Loop Header: Depth=2
	v_cmp_ne_u32_e32 vcc, s38, v0
	s_or_b64 s[36:37], s[8:9], vcc
	s_nor_b64 s[40:41], s[36:37], s[2:3]
	s_and_saveexec_b64 s[36:37], s[40:41]
	s_cbranch_execz .LBB1_54
; %bb.53:                               ;   in Loop: Header=BB1_52 Depth=2
	global_load_dword v2, v[12:13], off
	ds_read_b32 v16, v14
	s_waitcnt vmcnt(0) lgkmcnt(0)
	v_div_scale_f32 v17, s[40:41], v2, v2, v16
	v_rcp_f32_e32 v18, v17
	v_div_scale_f32 v19, vcc, v16, v2, v16
	v_fma_f32 v20, -v17, v18, 1.0
	v_fmac_f32_e32 v18, v20, v18
	v_mul_f32_e32 v20, v19, v18
	v_fma_f32 v21, -v17, v20, v19
	v_fmac_f32_e32 v20, v21, v18
	v_fma_f32 v17, -v17, v20, v19
	v_div_fmas_f32 v17, v17, v18, v20
	v_div_fixup_f32 v2, v17, v2, v16
	ds_write_b32 v14, v2
.LBB1_54:                               ;   in Loop: Header=BB1_52 Depth=2
	s_or_b64 exec, exec, s[36:37]
	v_cmp_lt_u32_e32 vcc, s38, v0
	s_waitcnt lgkmcnt(0)
	s_barrier
	s_and_saveexec_b64 s[36:37], vcc
	s_cbranch_execz .LBB1_57
; %bb.55:                               ;   in Loop: Header=BB1_52 Depth=2
	s_add_i32 s39, s14, s38
	s_cmp_lt_i32 s39, s15
	s_cselect_b64 s[40:41], -1, 0
	s_and_b64 s[40:41], s[34:35], s[40:41]
	s_and_b64 exec, exec, s[40:41]
	s_cbranch_execz .LBB1_57
; %bb.56:                               ;   in Loop: Header=BB1_52 Depth=2
	global_load_dword v2, v[10:11], off
	v_mov_b32_e32 v16, s33
	ds_read_b32 v16, v16
	ds_read_b32 v17, v14
	s_waitcnt vmcnt(0) lgkmcnt(0)
	v_fma_f32 v2, -v2, v16, v17
	ds_write_b32 v14, v2
.LBB1_57:                               ;   in Loop: Header=BB1_52 Depth=2
	s_or_b64 exec, exec, s[36:37]
	s_add_i32 s39, s38, 1
	v_cmp_ne_u32_e32 vcc, s39, v0
	s_or_b64 s[36:37], s[8:9], vcc
	s_nor_b64 s[40:41], s[36:37], s[2:3]
	s_and_saveexec_b64 s[36:37], s[40:41]
	s_cbranch_execz .LBB1_59
; %bb.58:                               ;   in Loop: Header=BB1_52 Depth=2
	global_load_dword v2, v[12:13], off
	ds_read_b32 v16, v14
	s_waitcnt vmcnt(0) lgkmcnt(0)
	v_div_scale_f32 v17, s[40:41], v2, v2, v16
	v_rcp_f32_e32 v18, v17
	v_div_scale_f32 v19, vcc, v16, v2, v16
	v_fma_f32 v20, -v17, v18, 1.0
	v_fmac_f32_e32 v18, v20, v18
	v_mul_f32_e32 v20, v19, v18
	v_fma_f32 v21, -v17, v20, v19
	v_fmac_f32_e32 v20, v21, v18
	v_fma_f32 v17, -v17, v20, v19
	v_div_fmas_f32 v17, v17, v18, v20
	v_div_fixup_f32 v2, v17, v2, v16
	ds_write_b32 v14, v2
.LBB1_59:                               ;   in Loop: Header=BB1_52 Depth=2
	s_or_b64 exec, exec, s[36:37]
	v_cmp_lt_u32_e32 vcc, s39, v0
	s_waitcnt lgkmcnt(0)
	s_barrier
	s_and_saveexec_b64 s[36:37], vcc
	s_cbranch_execz .LBB1_51
; %bb.60:                               ;   in Loop: Header=BB1_52 Depth=2
	s_add_i32 s38, s14, s38
	s_add_i32 s38, s38, 1
	s_cmp_lt_i32 s38, s15
	s_cselect_b64 s[40:41], -1, 0
	s_and_b64 s[40:41], s[34:35], s[40:41]
	s_and_b64 exec, exec, s[40:41]
	s_cbranch_execz .LBB1_51
; %bb.61:                               ;   in Loop: Header=BB1_52 Depth=2
	global_load_dword v2, v[10:11], off offset:4
	v_mov_b32_e32 v16, s33
	ds_read_b32 v16, v16 offset:4
	ds_read_b32 v17, v14
	s_waitcnt vmcnt(0) lgkmcnt(0)
	v_fma_f32 v2, -v2, v16, v17
	ds_write_b32 v14, v2
	s_branch .LBB1_51
.LBB1_62:                               ;   in Loop: Header=BB1_48 Depth=1
	s_add_i32 s33, s14, 0x200
	s_cmp_ge_i32 s33, s15
	s_cselect_b64 s[2:3], -1, 0
	s_and_b64 vcc, exec, s[2:3]
	s_waitcnt lgkmcnt(0)
	s_barrier
	s_cbranch_vccnz .LBB1_90
; %bb.63:                               ;   in Loop: Header=BB1_48 Depth=1
	s_mov_b64 s[34:35], 0
	v_mov_b32_e32 v2, v1
	v_mov_b64_e32 v[10:11], v[8:9]
	v_mov_b32_e32 v16, v0
	s_mov_b32 s42, s33
                                        ; implicit-def: $sgpr36_sgpr37
	s_branch .LBB1_66
.LBB1_64:                               ;   in Loop: Header=BB1_66 Depth=2
	v_mad_u64_u32 v[12:13], s[40:41], s6, v17, 0
	v_mov_b32_e32 v20, v13
	v_mad_u64_u32 v[20:21], s[40:41], s7, v17, v[20:21]
	v_mov_b32_e32 v13, v20
	v_lshl_add_u64 v[12:13], v[12:13], 2, s[12:13]
	global_load_dword v17, v[12:13], off
	s_addk_i32 s42, 0x200
	s_cmp_ge_i32 s42, s15
	s_cselect_b64 s[40:41], -1, 0
	s_andn2_b64 s[36:37], s[36:37], exec
	s_and_b64 s[40:41], s[40:41], exec
	v_lshl_add_u64 v[10:11], v[10:11], 0, s[26:27]
	v_add_u32_e32 v2, 0x200, v2
	s_or_b64 s[36:37], s[36:37], s[40:41]
	s_waitcnt vmcnt(0)
	v_sub_f32_e32 v17, v17, v18
	global_store_dword v[12:13], v17, off
.LBB1_65:                               ;   in Loop: Header=BB1_66 Depth=2
	s_or_b64 exec, exec, s[38:39]
	s_and_b64 s[38:39], exec, s[36:37]
	s_or_b64 s[34:35], s[38:39], s[34:35]
	s_andn2_b64 exec, exec, s[34:35]
	s_cbranch_execz .LBB1_89
.LBB1_66:                               ;   Parent Loop BB1_48 Depth=1
                                        ; =>  This Loop Header: Depth=2
                                        ;       Child Loop BB1_69 Depth 3
	v_add_u32_e32 v17, s42, v0
	v_cmp_gt_i32_e32 vcc, s15, v17
	s_or_b64 s[36:37], s[36:37], exec
	s_and_saveexec_b64 s[38:39], vcc
	s_cbranch_execz .LBB1_65
; %bb.67:                               ;   in Loop: Header=BB1_66 Depth=2
	v_mad_u64_u32 v[12:13], s[40:41], v10, v2, 0
	v_mov_b32_e32 v18, v13
	v_mad_u64_u32 v[18:19], s[40:41], v11, v2, v[18:19]
	v_mov_b32_e32 v13, v18
	v_lshlrev_b64 v[12:13], 1, v[12:13]
	v_and_b32_e32 v12, -4, v12
	v_lshl_add_u64 v[12:13], s[30:31], 0, v[12:13]
	v_add_u32_e32 v19, 0x1fd, v16
	v_add_u32_e32 v20, 0x1fe, v16
	;; [unrolled: 1-line block ×4, first 2 shown]
	v_mov_b32_e32 v18, 0
	s_mov_b32 s43, 0
	s_mov_b32 s44, 0
	s_branch .LBB1_69
.LBB1_68:                               ;   in Loop: Header=BB1_69 Depth=3
	s_or_b64 exec, exec, s[40:41]
	s_add_i32 s44, s44, 4
	s_add_i32 s43, s43, 16
	s_cmpk_eq_i32 s44, 0x200
	v_lshl_add_u64 v[12:13], v[12:13], 0, 16
	s_cbranch_scc1 .LBB1_64
.LBB1_69:                               ;   Parent Loop BB1_48 Depth=1
                                        ;     Parent Loop BB1_66 Depth=2
                                        ; =>    This Inner Loop Header: Depth=3
	v_cmp_ne_u32_e32 vcc, s44, v16
	s_add_i32 s45, s14, s44
	s_or_b64 s[40:41], s[4:5], vcc
	s_and_saveexec_b64 s[46:47], s[40:41]
	s_xor_b64 s[40:41], exec, s[46:47]
	s_cbranch_execz .LBB1_72
; %bb.70:                               ;   in Loop: Header=BB1_69 Depth=3
	s_cmp_ge_i32 s45, s15
	s_cbranch_scc1 .LBB1_72
; %bb.71:                               ;   in Loop: Header=BB1_69 Depth=3
	global_load_dword v22, v[12:13], off
	v_mov_b32_e32 v23, s43
	ds_read_b32 v23, v23
	s_waitcnt vmcnt(0) lgkmcnt(0)
	v_fmac_f32_e32 v18, v22, v23
.LBB1_72:                               ;   in Loop: Header=BB1_69 Depth=3
	s_andn2_saveexec_b64 s[40:41], s[40:41]
	s_cbranch_execz .LBB1_74
; %bb.73:                               ;   in Loop: Header=BB1_69 Depth=3
	v_mov_b32_e32 v22, s43
	ds_read_b32 v22, v22
	s_waitcnt lgkmcnt(0)
	v_add_f32_e32 v18, v18, v22
.LBB1_74:                               ;   in Loop: Header=BB1_69 Depth=3
	s_or_b64 exec, exec, s[40:41]
	v_cmp_ne_u32_e32 vcc, s44, v21
	s_or_b64 s[40:41], s[4:5], vcc
	s_and_saveexec_b64 s[46:47], s[40:41]
	s_xor_b64 s[40:41], exec, s[46:47]
	s_cbranch_execz .LBB1_77
; %bb.75:                               ;   in Loop: Header=BB1_69 Depth=3
	s_add_i32 s46, s45, 1
	s_cmp_ge_i32 s46, s15
	s_cbranch_scc1 .LBB1_77
; %bb.76:                               ;   in Loop: Header=BB1_69 Depth=3
	global_load_dword v22, v[12:13], off offset:4
	v_mov_b32_e32 v23, s43
	ds_read_b32 v23, v23 offset:4
	s_waitcnt vmcnt(0) lgkmcnt(0)
	v_fmac_f32_e32 v18, v22, v23
.LBB1_77:                               ;   in Loop: Header=BB1_69 Depth=3
	s_andn2_saveexec_b64 s[40:41], s[40:41]
	s_cbranch_execz .LBB1_79
; %bb.78:                               ;   in Loop: Header=BB1_69 Depth=3
	v_mov_b32_e32 v22, s43
	ds_read_b32 v22, v22 offset:4
	s_waitcnt lgkmcnt(0)
	v_add_f32_e32 v18, v18, v22
.LBB1_79:                               ;   in Loop: Header=BB1_69 Depth=3
	s_or_b64 exec, exec, s[40:41]
	v_cmp_ne_u32_e32 vcc, s44, v20
	s_or_b64 s[40:41], s[4:5], vcc
	s_and_saveexec_b64 s[46:47], s[40:41]
	s_xor_b64 s[40:41], exec, s[46:47]
	s_cbranch_execz .LBB1_82
; %bb.80:                               ;   in Loop: Header=BB1_69 Depth=3
	s_add_i32 s46, s45, 2
	s_cmp_ge_i32 s46, s15
	s_cbranch_scc1 .LBB1_82
; %bb.81:                               ;   in Loop: Header=BB1_69 Depth=3
	global_load_dword v22, v[12:13], off offset:8
	v_mov_b32_e32 v23, s43
	ds_read_b32 v23, v23 offset:8
	s_waitcnt vmcnt(0) lgkmcnt(0)
	v_fmac_f32_e32 v18, v22, v23
.LBB1_82:                               ;   in Loop: Header=BB1_69 Depth=3
	s_andn2_saveexec_b64 s[40:41], s[40:41]
	s_cbranch_execz .LBB1_84
; %bb.83:                               ;   in Loop: Header=BB1_69 Depth=3
	v_mov_b32_e32 v22, s43
	ds_read_b32 v22, v22 offset:8
	s_waitcnt lgkmcnt(0)
	v_add_f32_e32 v18, v18, v22
.LBB1_84:                               ;   in Loop: Header=BB1_69 Depth=3
	s_or_b64 exec, exec, s[40:41]
	v_cmp_ne_u32_e32 vcc, s44, v19
	s_or_b64 s[40:41], s[4:5], vcc
	s_and_saveexec_b64 s[46:47], s[40:41]
	s_xor_b64 s[40:41], exec, s[46:47]
	s_cbranch_execz .LBB1_87
; %bb.85:                               ;   in Loop: Header=BB1_69 Depth=3
	s_add_i32 s45, s45, 3
	s_cmp_ge_i32 s45, s15
	s_cbranch_scc1 .LBB1_87
; %bb.86:                               ;   in Loop: Header=BB1_69 Depth=3
	global_load_dword v22, v[12:13], off offset:12
	v_mov_b32_e32 v23, s43
	ds_read_b32 v23, v23 offset:12
	s_waitcnt vmcnt(0) lgkmcnt(0)
	v_fmac_f32_e32 v18, v22, v23
.LBB1_87:                               ;   in Loop: Header=BB1_69 Depth=3
	s_andn2_saveexec_b64 s[40:41], s[40:41]
	s_cbranch_execz .LBB1_68
; %bb.88:                               ;   in Loop: Header=BB1_69 Depth=3
	v_mov_b32_e32 v22, s43
	ds_read_b32 v22, v22 offset:12
	s_waitcnt lgkmcnt(0)
	v_add_f32_e32 v18, v18, v22
	s_branch .LBB1_68
.LBB1_89:                               ;   in Loop: Header=BB1_48 Depth=1
	s_or_b64 exec, exec, s[34:35]
.LBB1_90:                               ;   in Loop: Header=BB1_48 Depth=1
	s_and_saveexec_b64 s[34:35], s[0:1]
	s_cbranch_execz .LBB1_47
; %bb.91:                               ;   in Loop: Header=BB1_48 Depth=1
	ds_read_b32 v16, v14
	v_mad_u64_u32 v[10:11], s[0:1], s6, v15, 0
	v_mov_b32_e32 v2, v11
	v_mad_u64_u32 v[12:13], s[0:1], s7, v15, v[2:3]
	v_mov_b32_e32 v11, v12
	v_lshl_add_u64 v[10:11], v[10:11], 2, s[12:13]
	s_waitcnt lgkmcnt(0)
	global_store_dword v[10:11], v16, off
	s_branch .LBB1_47
.LBB1_92:
	s_mov_b64 s[0:1], 0
.LBB1_93:
	s_andn2_b64 vcc, exec, s[0:1]
	s_cbranch_vccnz .LBB1_180
; %bb.94:
	s_mov_b64 s[0:1], -1
	s_and_b64 vcc, exec, s[22:23]
	s_cbranch_vccz .LBB1_134
; %bb.95:
	s_andn2_b64 vcc, exec, s[16:17]
	s_cbranch_vccnz .LBB1_133
; %bb.96:
	s_lshl_b32 s22, s15, 1
	s_or_b32 s14, s22, 1
	s_add_u32 s0, s20, s24
	s_addc_u32 s1, s21, s25
	s_add_u32 s18, s18, s0
	s_addc_u32 s19, s19, s1
	s_ashr_i32 s23, s22, 31
	s_lshl_b64 s[0:1], s[22:23], 9
	s_add_u32 s42, s0, 0xfffbfe00
	s_addc_u32 s43, s1, -1
	s_lshl_b64 s[2:3], s[22:23], 1
	s_add_u32 s20, s2, -6
	s_addc_u32 s21, s3, -1
	s_add_u32 s38, s0, 0xfffc0200
	s_addc_u32 s39, s1, -1
	v_mov_b32_e32 v1, 0
	s_add_u32 s24, s2, -2
	v_lshlrev_b32_e32 v2, 2, v0
	v_mov_b32_e32 v3, v1
	s_addc_u32 s25, s3, -1
	v_lshl_add_u64 v[4:5], s[18:19], 0, v[2:3]
	s_add_u32 s26, s18, -4
	v_lshl_add_u64 v[6:7], v[4:5], 0, -4
	s_addc_u32 s27, s19, -1
	v_or_b32_e32 v8, 0x200, v0
	s_mov_b64 s[28:29], 0
	s_mov_b64 s[30:31], 0x200
	s_mov_b64 s[34:35], 0x1ff
	s_mov_b64 s[36:37], 0x800
	s_mov_b64 s[40:41], 0
	s_mov_b64 s[44:45], 0
	s_branch .LBB1_98
.LBB1_97:                               ;   in Loop: Header=BB1_98 Depth=1
	s_or_b64 exec, exec, s[44:45]
	s_add_u32 s0, s42, 0xfff80000
	s_addc_u32 s1, s43, -1
	s_add_u32 s22, s22, s42
	s_addc_u32 s23, s23, s43
	s_add_u32 s20, s20, 0xfffff800
	s_addc_u32 s21, s21, -1
	s_add_u32 s42, s38, 0xfff80000
	s_addc_u32 s43, s39, -1
	s_add_u32 s28, s28, s38
	s_addc_u32 s29, s29, s39
	s_add_u32 s24, s24, 0xfffff800
	s_addc_u32 s25, s25, -1
	s_add_u32 s40, s40, 0xfffffe00
	s_addc_u32 s41, s41, -1
	v_add_u32_e32 v8, 0x200, v8
	s_and_b64 vcc, exec, s[4:5]
	s_mov_b64 s[38:39], s[42:43]
	s_mov_b64 s[44:45], s[2:3]
	s_mov_b64 s[42:43], s[0:1]
	s_barrier
	s_cbranch_vccnz .LBB1_133
.LBB1_98:                               ; =>This Loop Header: Depth=1
                                        ;     Child Loop BB1_102 Depth 2
                                        ;     Child Loop BB1_116 Depth 2
                                        ;       Child Loop BB1_118 Depth 3
	v_add_u32_e32 v3, s44, v0
	v_cmp_le_i32_e64 s[2:3], s15, v3
	v_cmp_gt_i32_e64 s[0:1], s15, v3
	s_and_saveexec_b64 s[4:5], s[0:1]
	s_cbranch_execz .LBB1_100
; %bb.99:                               ;   in Loop: Header=BB1_98 Depth=1
	v_mad_u64_u32 v[10:11], s[46:47], s6, v3, 0
	v_mov_b32_e32 v12, v11
	v_mad_u64_u32 v[12:13], s[46:47], s7, v3, v[12:13]
	v_mov_b32_e32 v11, v12
	v_lshl_add_u64 v[10:11], v[10:11], 2, s[12:13]
	global_load_dword v9, v[10:11], off
	s_waitcnt vmcnt(0)
	ds_write_b32 v2, v9
.LBB1_100:                              ;   in Loop: Header=BB1_98 Depth=1
	s_or_b64 exec, exec, s[4:5]
	v_or_b32_e32 v9, s44, v0
	v_sub_u32_e32 v10, s14, v9
	v_ashrrev_i32_e32 v13, 31, v10
	v_mad_u64_u32 v[10:11], s[46:47], v10, v9, 0
	v_mov_b32_e32 v12, v11
	v_mad_u64_u32 v[12:13], s[46:47], v13, v9, v[12:13]
	v_mov_b32_e32 v11, v12
	v_lshlrev_b64 v[10:11], 1, v[10:11]
	v_and_b32_e32 v10, -4, v10
	v_cmp_le_i32_e64 s[4:5], s15, v9
	v_lshl_add_u64 v[10:11], s[10:11], 0, v[10:11]
	s_mov_b32 s33, 0
	s_mov_b64 s[54:55], 0
	s_mov_b64 s[46:47], s[28:29]
	;; [unrolled: 1-line block ×3, first 2 shown]
	v_mov_b64_e32 v[12:13], v[4:5]
	s_mov_b64 s[48:49], s[22:23]
	s_mov_b64 s[52:53], s[20:21]
	v_mov_b64_e32 v[14:15], v[6:7]
	s_waitcnt lgkmcnt(0)
	s_barrier
	s_branch .LBB1_102
.LBB1_101:                              ;   in Loop: Header=BB1_102 Depth=2
	s_or_b64 exec, exec, s[56:57]
	s_add_i32 s33, s33, 8
	s_add_u32 s56, s52, -8
	s_addc_u32 s57, s53, -1
	s_add_u32 s48, s48, s52
	s_addc_u32 s49, s49, s53
	s_add_u32 s52, s50, -8
	s_addc_u32 s53, s51, -1
	s_add_u32 s46, s46, s50
	s_addc_u32 s47, s47, s51
	s_add_u32 s54, s58, 1
	s_addc_u32 s55, s55, 0
	v_lshl_add_u64 v[14:15], v[14:15], 0, -8
	v_lshl_add_u64 v[12:13], v[12:13], 0, -8
	s_cmpk_eq_i32 s54, 0x200
	s_mov_b64 s[50:51], s[52:53]
	s_mov_b64 s[52:53], s[56:57]
	s_cbranch_scc1 .LBB1_112
.LBB1_102:                              ;   Parent Loop BB1_98 Depth=1
                                        ; =>  This Inner Loop Header: Depth=2
	v_cmp_ne_u32_e32 vcc, s54, v0
	s_or_b64 s[56:57], s[8:9], vcc
	s_nor_b64 s[58:59], s[56:57], s[4:5]
	s_and_saveexec_b64 s[56:57], s[58:59]
	s_cbranch_execz .LBB1_104
; %bb.103:                              ;   in Loop: Header=BB1_102 Depth=2
	global_load_dword v9, v[10:11], off
	ds_read_b32 v16, v2
	s_waitcnt vmcnt(0) lgkmcnt(0)
	v_div_scale_f32 v17, s[58:59], v9, v9, v16
	v_rcp_f32_e32 v18, v17
	v_div_scale_f32 v19, vcc, v16, v9, v16
	v_fma_f32 v20, -v17, v18, 1.0
	v_fmac_f32_e32 v18, v20, v18
	v_mul_f32_e32 v20, v19, v18
	v_fma_f32 v21, -v17, v20, v19
	v_fmac_f32_e32 v20, v21, v18
	v_fma_f32 v17, -v17, v20, v19
	v_div_fmas_f32 v17, v17, v18, v20
	v_div_fixup_f32 v9, v17, v9, v16
	ds_write_b32 v2, v9
.LBB1_104:                              ;   in Loop: Header=BB1_102 Depth=2
	s_or_b64 exec, exec, s[56:57]
	v_cmp_lt_u32_e32 vcc, s54, v0
	s_waitcnt lgkmcnt(0)
	s_barrier
	s_and_saveexec_b64 s[56:57], vcc
	s_cbranch_execz .LBB1_107
; %bb.105:                              ;   in Loop: Header=BB1_102 Depth=2
	s_add_i32 s58, s44, s54
	s_cmp_lt_i32 s58, s15
	s_cselect_b64 s[58:59], -1, 0
	s_xor_b64 s[60:61], s[2:3], -1
	s_and_b64 s[58:59], s[60:61], s[58:59]
	s_and_b64 exec, exec, s[58:59]
	s_cbranch_execz .LBB1_107
; %bb.106:                              ;   in Loop: Header=BB1_102 Depth=2
	s_lshl_b64 s[58:59], s[46:47], 1
	s_and_b32 s58, s58, -4
	v_lshl_add_u64 v[16:17], v[12:13], 0, s[58:59]
	global_load_dword v9, v[16:17], off
	v_mov_b32_e32 v16, s33
	ds_read_b32 v16, v16
	ds_read_b32 v17, v2
	s_waitcnt vmcnt(0) lgkmcnt(0)
	v_fma_f32 v9, -v9, v16, v17
	ds_write_b32 v2, v9
.LBB1_107:                              ;   in Loop: Header=BB1_102 Depth=2
	s_or_b64 exec, exec, s[56:57]
	s_add_u32 s58, s54, 1
	v_cmp_ne_u32_e32 vcc, s58, v0
	s_addc_u32 s55, s55, 0
	s_or_b64 s[56:57], s[8:9], vcc
	s_nor_b64 s[60:61], s[56:57], s[4:5]
	s_and_saveexec_b64 s[56:57], s[60:61]
	s_cbranch_execz .LBB1_109
; %bb.108:                              ;   in Loop: Header=BB1_102 Depth=2
	global_load_dword v9, v[10:11], off
	ds_read_b32 v16, v2
	s_waitcnt vmcnt(0) lgkmcnt(0)
	v_div_scale_f32 v17, s[60:61], v9, v9, v16
	v_rcp_f32_e32 v18, v17
	v_div_scale_f32 v19, vcc, v16, v9, v16
	v_fma_f32 v20, -v17, v18, 1.0
	v_fmac_f32_e32 v18, v20, v18
	v_mul_f32_e32 v20, v19, v18
	v_fma_f32 v21, -v17, v20, v19
	v_fmac_f32_e32 v20, v21, v18
	v_fma_f32 v17, -v17, v20, v19
	v_div_fmas_f32 v17, v17, v18, v20
	v_div_fixup_f32 v9, v17, v9, v16
	ds_write_b32 v2, v9
.LBB1_109:                              ;   in Loop: Header=BB1_102 Depth=2
	s_or_b64 exec, exec, s[56:57]
	v_cmp_lt_u32_e32 vcc, s58, v0
	s_waitcnt lgkmcnt(0)
	s_barrier
	s_and_saveexec_b64 s[56:57], vcc
	s_cbranch_execz .LBB1_101
; %bb.110:                              ;   in Loop: Header=BB1_102 Depth=2
	s_add_i32 s54, s44, s54
	s_add_i32 s54, s54, 1
	s_cmp_lt_i32 s54, s15
	s_cselect_b64 s[60:61], -1, 0
	s_xor_b64 s[62:63], s[2:3], -1
	s_and_b64 s[60:61], s[62:63], s[60:61]
	s_and_b64 exec, exec, s[60:61]
	s_cbranch_execz .LBB1_101
; %bb.111:                              ;   in Loop: Header=BB1_102 Depth=2
	s_lshl_b64 s[60:61], s[48:49], 1
	s_and_b32 s60, s60, -4
	v_lshl_add_u64 v[16:17], v[14:15], 0, s[60:61]
	global_load_dword v9, v[16:17], off
	v_mov_b32_e32 v16, s33
	ds_read_b32 v16, v16 offset:4
	ds_read_b32 v17, v2
	s_waitcnt vmcnt(0) lgkmcnt(0)
	v_fma_f32 v9, -v9, v16, v17
	ds_write_b32 v2, v9
	s_branch .LBB1_101
.LBB1_112:                              ;   in Loop: Header=BB1_98 Depth=1
	s_add_u32 s2, s44, 0x200
	s_addc_u32 s3, s45, 0
	s_cmp_ge_i32 s2, s15
	s_cselect_b64 s[4:5], -1, 0
	s_and_b64 vcc, exec, s[4:5]
	s_waitcnt lgkmcnt(0)
	s_barrier
	s_cbranch_vccnz .LBB1_131
; %bb.113:                              ;   in Loop: Header=BB1_98 Depth=1
	v_ashrrev_i32_e32 v9, 31, v8
	v_lshl_add_u64 v[10:11], s[40:41], 0, v[8:9]
	v_lshlrev_b64 v[12:13], 2, v[10:11]
	s_mov_b32 s33, s2
	v_lshl_add_u64 v[10:11], s[26:27], 0, v[12:13]
	v_lshl_add_u64 v[12:13], s[18:19], 0, v[12:13]
	s_mov_b64 s[46:47], 0
	v_mov_b64_e32 v[14:15], v[0:1]
                                        ; implicit-def: $sgpr48_sgpr49
	s_branch .LBB1_116
.LBB1_114:                              ;   in Loop: Header=BB1_116 Depth=2
	v_mad_u64_u32 v[18:19], s[52:53], s6, v9, 0
	v_mov_b32_e32 v16, v19
	v_mad_u64_u32 v[20:21], s[52:53], s7, v9, v[16:17]
	v_mov_b32_e32 v19, v20
	v_lshl_add_u64 v[18:19], v[18:19], 2, s[12:13]
	global_load_dword v9, v[18:19], off
	s_addk_i32 s33, 0x200
	s_cmp_ge_i32 s33, s15
	s_cselect_b64 s[52:53], -1, 0
	s_andn2_b64 s[48:49], s[48:49], exec
	s_and_b64 s[52:53], s[52:53], exec
	v_lshl_add_u64 v[10:11], v[10:11], 0, s[36:37]
	v_lshl_add_u64 v[12:13], v[12:13], 0, s[36:37]
	s_or_b64 s[48:49], s[48:49], s[52:53]
	s_waitcnt vmcnt(0)
	v_sub_f32_e32 v9, v9, v17
	global_store_dword v[18:19], v9, off
.LBB1_115:                              ;   in Loop: Header=BB1_116 Depth=2
	s_or_b64 exec, exec, s[50:51]
	s_and_b64 s[50:51], exec, s[48:49]
	s_or_b64 s[46:47], s[50:51], s[46:47]
	s_andn2_b64 exec, exec, s[46:47]
	s_cbranch_execz .LBB1_130
.LBB1_116:                              ;   Parent Loop BB1_98 Depth=1
                                        ; =>  This Loop Header: Depth=2
                                        ;       Child Loop BB1_118 Depth 3
	v_add_u32_e32 v9, s33, v0
	v_cmp_gt_i32_e32 vcc, s15, v9
	s_or_b64 s[48:49], s[48:49], exec
	s_and_saveexec_b64 s[50:51], vcc
	s_cbranch_execz .LBB1_115
; %bb.117:                              ;   in Loop: Header=BB1_116 Depth=2
	v_lshl_add_u64 v[16:17], v[14:15], 0, s[34:35]
	v_lshl_add_u64 v[14:15], v[14:15], 0, s[30:31]
	v_mov_b32_e32 v17, 0
	s_mov_b64 s[52:53], 0
	s_mov_b32 s45, 0
	s_mov_b64 s[54:55], s[28:29]
	s_mov_b64 s[58:59], s[24:25]
	v_mov_b64_e32 v[18:19], v[12:13]
	s_mov_b64 s[56:57], s[22:23]
	s_mov_b64 s[60:61], s[20:21]
	v_mov_b64_e32 v[20:21], v[10:11]
.LBB1_118:                              ;   Parent Loop BB1_98 Depth=1
                                        ;     Parent Loop BB1_116 Depth=2
                                        ; =>    This Inner Loop Header: Depth=3
	v_cmp_ne_u32_e32 vcc, s52, v14
	s_xor_b64 s[62:63], s[8:9], -1
	s_add_u32 s66, s44, s52
	s_or_b64 s[64:65], s[62:63], vcc
	s_and_saveexec_b64 s[68:69], s[64:65]
	s_xor_b64 s[64:65], exec, s[68:69]
	s_cbranch_execz .LBB1_121
; %bb.119:                              ;   in Loop: Header=BB1_118 Depth=3
	s_cmp_ge_i32 s66, s15
	s_cbranch_scc1 .LBB1_121
; %bb.120:                              ;   in Loop: Header=BB1_118 Depth=3
	s_lshl_b64 s[68:69], s[54:55], 1
	s_and_b32 s68, s68, -4
	v_lshl_add_u64 v[22:23], v[18:19], 0, s[68:69]
	global_load_dword v22, v[22:23], off
	v_mov_b32_e32 v23, s45
	ds_read_b32 v23, v23
	s_waitcnt vmcnt(0) lgkmcnt(0)
	v_fmac_f32_e32 v17, v22, v23
.LBB1_121:                              ;   in Loop: Header=BB1_118 Depth=3
	s_andn2_saveexec_b64 s[64:65], s[64:65]
	s_cbranch_execz .LBB1_123
; %bb.122:                              ;   in Loop: Header=BB1_118 Depth=3
	v_mov_b32_e32 v22, s45
	ds_read_b32 v22, v22
	s_waitcnt lgkmcnt(0)
	v_add_f32_e32 v17, v17, v22
.LBB1_123:                              ;   in Loop: Header=BB1_118 Depth=3
	s_or_b64 exec, exec, s[64:65]
	v_cmp_ne_u32_e32 vcc, s52, v16
	s_or_b64 s[62:63], s[62:63], vcc
	s_and_saveexec_b64 s[64:65], s[62:63]
	s_xor_b64 s[62:63], exec, s[64:65]
	s_cbranch_execz .LBB1_126
; %bb.124:                              ;   in Loop: Header=BB1_118 Depth=3
	s_add_i32 s66, s66, 1
	s_cmp_ge_i32 s66, s15
	s_cbranch_scc1 .LBB1_126
; %bb.125:                              ;   in Loop: Header=BB1_118 Depth=3
	s_lshl_b64 s[64:65], s[56:57], 1
	s_and_b32 s64, s64, -4
	v_lshl_add_u64 v[22:23], v[20:21], 0, s[64:65]
	global_load_dword v22, v[22:23], off
	v_mov_b32_e32 v23, s45
	ds_read_b32 v23, v23 offset:4
	s_waitcnt vmcnt(0) lgkmcnt(0)
	v_fmac_f32_e32 v17, v22, v23
.LBB1_126:                              ;   in Loop: Header=BB1_118 Depth=3
	s_andn2_saveexec_b64 s[62:63], s[62:63]
	s_cbranch_execz .LBB1_128
; %bb.127:                              ;   in Loop: Header=BB1_118 Depth=3
	v_mov_b32_e32 v22, s45
	ds_read_b32 v22, v22 offset:4
	s_waitcnt lgkmcnt(0)
	v_add_f32_e32 v17, v17, v22
.LBB1_128:                              ;   in Loop: Header=BB1_118 Depth=3
	s_or_b64 exec, exec, s[62:63]
	s_add_u32 s52, s52, 2
	s_addc_u32 s53, s53, 0
	s_add_i32 s45, s45, 8
	s_add_u32 s62, s60, -8
	s_addc_u32 s63, s61, -1
	s_add_u32 s56, s56, s60
	s_addc_u32 s57, s57, s61
	s_add_u32 s60, s58, -8
	s_addc_u32 s61, s59, -1
	s_add_u32 s54, s54, s58
	s_addc_u32 s55, s55, s59
	v_lshl_add_u64 v[20:21], v[20:21], 0, -8
	s_cmpk_eq_i32 s52, 0x200
	v_lshl_add_u64 v[18:19], v[18:19], 0, -8
	s_cbranch_scc1 .LBB1_114
; %bb.129:                              ;   in Loop: Header=BB1_118 Depth=3
	s_mov_b64 s[58:59], s[60:61]
	s_mov_b64 s[60:61], s[62:63]
	s_branch .LBB1_118
.LBB1_130:                              ;   in Loop: Header=BB1_98 Depth=1
	s_or_b64 exec, exec, s[46:47]
.LBB1_131:                              ;   in Loop: Header=BB1_98 Depth=1
	s_and_saveexec_b64 s[44:45], s[0:1]
	s_cbranch_execz .LBB1_97
; %bb.132:                              ;   in Loop: Header=BB1_98 Depth=1
	ds_read_b32 v9, v2
	v_mad_u64_u32 v[10:11], s[0:1], s6, v3, 0
	v_mov_b32_e32 v12, v11
	v_mad_u64_u32 v[12:13], s[0:1], s7, v3, v[12:13]
	v_mov_b32_e32 v11, v12
	v_lshl_add_u64 v[10:11], v[10:11], 2, s[12:13]
	s_waitcnt lgkmcnt(0)
	global_store_dword v[10:11], v9, off
	s_branch .LBB1_97
.LBB1_133:
	s_mov_b64 s[0:1], 0
.LBB1_134:
	s_andn2_b64 vcc, exec, s[0:1]
	s_cbranch_vccnz .LBB1_180
; %bb.135:
	s_andn2_b64 vcc, exec, s[16:17]
	s_cbranch_vccnz .LBB1_180
; %bb.136:
	v_mov_b32_e32 v1, 0x800
	v_mov_b32_e32 v3, 0
	s_movk_i32 s26, 0xfe00
	s_add_i32 s45, s15, 0xfffffe00
	v_lshl_or_b32 v24, v0, 2, v1
	v_add_u32_e32 v25, 0xfffffe01, v0
	s_mov_b32 s33, 0
	s_mov_b32 s44, s15
	v_mov_b32_e32 v1, v3
	s_mov_b64 s[4:5], 0xfffffdfd
	s_mov_b64 s[14:15], 0xfffffdfe
	s_mov_b64 s[16:17], 0xfffffdff
	s_mov_b64 s[18:19], 0xfffffe00
	s_xor_b64 s[20:21], s[8:9], -1
	s_mov_b64 s[22:23], 0xfffffe02
	s_mov_b64 s[24:25], 0xfffffe03
	s_mov_b32 s27, -1
	s_branch .LBB1_138
.LBB1_137:                              ;   in Loop: Header=BB1_138 Depth=1
	s_or_b64 exec, exec, s[28:29]
	s_add_u32 s44, s44, 0xfffffe00
	s_addc_u32 s33, s33, -1
	s_and_b64 vcc, exec, s[2:3]
	s_mov_b32 s45, s46
	s_barrier
	s_cbranch_vccnz .LBB1_180
.LBB1_138:                              ; =>This Loop Header: Depth=1
                                        ;     Child Loop BB1_143 Depth 2
                                        ;     Child Loop BB1_158 Depth 2
                                        ;       Child Loop BB1_161 Depth 3
	v_add_u32_e32 v4, s45, v0
	v_cmp_gt_i32_e32 vcc, 0, v4
	v_cmp_lt_i32_e64 s[0:1], -1, v4
	v_mov_b32_e32 v5, v3
	s_and_saveexec_b64 s[2:3], s[0:1]
	s_cbranch_execz .LBB1_140
; %bb.139:                              ;   in Loop: Header=BB1_138 Depth=1
	v_mad_u64_u32 v[6:7], s[28:29], s6, v4, 0
	v_mov_b32_e32 v2, v7
	v_mad_u64_u32 v[8:9], s[28:29], s7, v4, v[2:3]
	v_mov_b32_e32 v7, v8
	v_lshl_add_u64 v[6:7], v[6:7], 2, s[12:13]
	global_load_dword v2, v[6:7], off
	s_waitcnt vmcnt(0)
	ds_write_b32 v24, v2
.LBB1_140:                              ;   in Loop: Header=BB1_138 Depth=1
	s_or_b64 exec, exec, s[2:3]
	v_add_u32_e32 v2, 1, v4
	v_mad_u64_u32 v[8:9], s[2:3], v4, v2, 0
	v_lshlrev_b64 v[8:9], 1, v[8:9]
	v_ashrrev_i32_e32 v7, 31, v4
	v_mov_b32_e32 v6, v4
	v_lshl_add_u64 v[10:11], v[4:5], 2, s[10:11]
	v_and_b32_e32 v8, -4, v8
	s_or_b64 s[2:3], s[8:9], vcc
	v_lshl_add_u64 v[6:7], v[6:7], 2, s[10:11]
	v_lshl_add_u64 v[8:9], v[10:11], 0, v[8:9]
	s_movk_i32 s34, 0x1ff
	s_movk_i32 s35, 0xff8
	v_mov_b32_e32 v5, s44
	s_xor_b64 s[28:29], s[2:3], -1
	v_mov_b32_e32 v2, v25
	s_waitcnt lgkmcnt(0)
	s_barrier
	s_branch .LBB1_143
.LBB1_141:                              ;   in Loop: Header=BB1_143 Depth=2
	s_or_b64 exec, exec, s[30:31]
	v_mov_b32_e32 v5, v11
.LBB1_142:                              ;   in Loop: Header=BB1_143 Depth=2
	s_or_b64 exec, exec, s[2:3]
	s_add_i32 s34, s34, -2
	s_add_i32 s35, s35, -8
	s_cmp_eq_u32 s36, 0
	v_add_u32_e32 v2, 2, v2
	s_cbranch_scc1 .LBB1_154
.LBB1_143:                              ;   Parent Loop BB1_138 Depth=1
                                        ; =>  This Inner Loop Header: Depth=2
	v_cmp_eq_u32_e32 vcc, 0, v2
	s_and_b64 s[30:31], vcc, s[28:29]
	s_and_saveexec_b64 s[2:3], s[30:31]
	s_cbranch_execz .LBB1_145
; %bb.144:                              ;   in Loop: Header=BB1_143 Depth=2
	global_load_dword v10, v[8:9], off
	ds_read_b32 v11, v24
	s_waitcnt vmcnt(0) lgkmcnt(0)
	v_div_scale_f32 v12, s[30:31], v10, v10, v11
	v_rcp_f32_e32 v13, v12
	v_div_scale_f32 v14, vcc, v11, v10, v11
	v_fma_f32 v15, -v12, v13, 1.0
	v_fmac_f32_e32 v13, v15, v13
	v_mul_f32_e32 v15, v14, v13
	v_fma_f32 v16, -v12, v15, v14
	v_fmac_f32_e32 v15, v16, v13
	v_fma_f32 v12, -v12, v15, v14
	v_div_fmas_f32 v12, v12, v13, v15
	v_div_fixup_f32 v10, v12, v10, v11
	ds_write_b32 v24, v10
.LBB1_145:                              ;   in Loop: Header=BB1_143 Depth=2
	s_or_b64 exec, exec, s[2:3]
	v_add_u32_e32 v10, -1, v5
	v_or_b32_e32 v11, v4, v10
	v_cmp_gt_u32_e32 vcc, s34, v0
	v_cmp_lt_i32_e64 s[2:3], -1, v11
	s_and_b64 s[30:31], vcc, s[2:3]
	s_waitcnt lgkmcnt(0)
	s_barrier
	s_and_saveexec_b64 s[2:3], s[30:31]
	s_cbranch_execz .LBB1_147
; %bb.146:                              ;   in Loop: Header=BB1_143 Depth=2
	v_mad_u64_u32 v[12:13], s[30:31], v5, v10, 0
	v_lshlrev_b64 v[12:13], 1, v[12:13]
	v_and_b32_e32 v12, -4, v12
	v_lshl_add_u64 v[12:13], v[6:7], 0, v[12:13]
	global_load_dword v11, v[12:13], off
	v_mov_b32_e32 v12, s35
	ds_read_b32 v12, v12 offset:4
	ds_read_b32 v13, v24
	s_waitcnt vmcnt(0) lgkmcnt(0)
	v_fma_f32 v11, -v11, v12, v13
	ds_write_b32 v24, v11
.LBB1_147:                              ;   in Loop: Header=BB1_143 Depth=2
	s_or_b64 exec, exec, s[2:3]
	s_add_i32 s36, s34, -1
	v_cmp_eq_u32_e32 vcc, s36, v0
	s_and_b64 s[30:31], vcc, s[28:29]
	s_and_saveexec_b64 s[2:3], s[30:31]
	s_cbranch_execz .LBB1_149
; %bb.148:                              ;   in Loop: Header=BB1_143 Depth=2
	global_load_dword v11, v[8:9], off
	ds_read_b32 v12, v24
	s_waitcnt vmcnt(0) lgkmcnt(0)
	v_div_scale_f32 v13, s[30:31], v11, v11, v12
	v_rcp_f32_e32 v14, v13
	v_div_scale_f32 v15, vcc, v12, v11, v12
	v_fma_f32 v16, -v13, v14, 1.0
	v_fmac_f32_e32 v14, v16, v14
	v_mul_f32_e32 v16, v15, v14
	v_fma_f32 v17, -v13, v16, v15
	v_fmac_f32_e32 v16, v17, v14
	v_fma_f32 v13, -v13, v16, v15
	v_div_fmas_f32 v13, v13, v14, v16
	v_div_fixup_f32 v11, v13, v11, v12
	ds_write_b32 v24, v11
.LBB1_149:                              ;   in Loop: Header=BB1_143 Depth=2
	s_or_b64 exec, exec, s[2:3]
	v_cmp_le_u32_e32 vcc, s36, v0
	v_add_u32_e32 v11, -2, v5
	s_waitcnt lgkmcnt(0)
	s_barrier
	s_and_saveexec_b64 s[2:3], vcc
	s_xor_b64 s[2:3], exec, s[2:3]
; %bb.150:                              ;   in Loop: Header=BB1_143 Depth=2
	v_add_u32_e32 v5, -2, v5
                                        ; implicit-def: $vgpr11
                                        ; implicit-def: $vgpr10
; %bb.151:                              ;   in Loop: Header=BB1_143 Depth=2
	s_andn2_saveexec_b64 s[2:3], s[2:3]
	s_cbranch_execz .LBB1_142
; %bb.152:                              ;   in Loop: Header=BB1_143 Depth=2
	v_or_b32_e32 v5, v4, v11
	v_cmp_lt_i32_e32 vcc, -1, v5
	s_and_saveexec_b64 s[30:31], vcc
	s_cbranch_execz .LBB1_141
; %bb.153:                              ;   in Loop: Header=BB1_143 Depth=2
	v_mad_u64_u32 v[12:13], s[38:39], v10, v11, 0
	v_lshlrev_b64 v[12:13], 1, v[12:13]
	v_and_b32_e32 v12, -4, v12
	v_lshl_add_u64 v[12:13], v[6:7], 0, v[12:13]
	global_load_dword v5, v[12:13], off
	v_mov_b32_e32 v10, s35
	ds_read_b32 v10, v10
	ds_read_b32 v12, v24
	s_waitcnt vmcnt(0) lgkmcnt(0)
	v_fma_f32 v5, -v5, v10, v12
	ds_write_b32 v24, v5
	s_branch .LBB1_141
.LBB1_154:                              ;   in Loop: Header=BB1_138 Depth=1
	s_add_i32 s46, s45, 0xfffffe00
	s_cmp_lt_i32 s45, 1
	s_cselect_b64 s[2:3], -1, 0
	s_and_b64 vcc, exec, s[2:3]
	s_waitcnt lgkmcnt(0)
	s_barrier
	s_cbranch_vccnz .LBB1_178
; %bb.155:                              ;   in Loop: Header=BB1_138 Depth=1
	s_mov_b64 s[28:29], 0
	v_mov_b64_e32 v[6:7], v[0:1]
	s_mov_b32 s47, s46
                                        ; implicit-def: $sgpr30_sgpr31
	s_branch .LBB1_158
.LBB1_156:                              ;   in Loop: Header=BB1_158 Depth=2
	v_mad_u64_u32 v[8:9], s[36:37], s6, v2, 0
	v_mov_b32_e32 v10, v9
	v_mad_u64_u32 v[10:11], s[36:37], s7, v2, v[10:11]
	v_mov_b32_e32 v9, v10
	v_lshl_add_u64 v[8:9], v[8:9], 2, s[12:13]
	global_load_dword v2, v[8:9], off
	s_add_i32 s38, s47, 0xfffffe00
	s_cmp_lt_i32 s47, 1
	s_cselect_b64 s[36:37], -1, 0
	s_andn2_b64 s[30:31], s[30:31], exec
	s_and_b64 s[36:37], s[36:37], exec
	v_lshl_add_u64 v[6:7], v[6:7], 0, s[26:27]
	s_or_b64 s[30:31], s[30:31], s[36:37]
	s_mov_b32 s47, s38
	s_waitcnt vmcnt(0)
	v_sub_f32_e32 v2, v2, v5
	global_store_dword v[8:9], v2, off
.LBB1_157:                              ;   in Loop: Header=BB1_158 Depth=2
	s_or_b64 exec, exec, s[34:35]
	s_and_b64 s[34:35], exec, s[30:31]
	s_or_b64 s[28:29], s[34:35], s[28:29]
	s_andn2_b64 exec, exec, s[28:29]
	s_cbranch_execz .LBB1_177
.LBB1_158:                              ;   Parent Loop BB1_138 Depth=1
                                        ; =>  This Loop Header: Depth=2
                                        ;       Child Loop BB1_161 Depth 3
	v_add_u32_e32 v2, s47, v0
	v_cmp_lt_i32_e32 vcc, -1, v2
	s_or_b64 s[30:31], s[30:31], exec
	s_and_saveexec_b64 s[34:35], vcc
	s_cbranch_execz .LBB1_157
; %bb.159:                              ;   in Loop: Header=BB1_158 Depth=2
	v_lshl_add_u64 v[8:9], v[2:3], 2, s[10:11]
	v_lshl_add_u64 v[10:11], v[6:7], 0, s[4:5]
	;; [unrolled: 1-line block ×5, first 2 shown]
	v_mov_b32_e32 v5, 0
	s_movk_i32 s48, 0x800
	s_mov_b64 s[36:37], 0
	s_branch .LBB1_161
.LBB1_160:                              ;   in Loop: Header=BB1_161 Depth=3
	s_or_b64 exec, exec, s[38:39]
	s_waitcnt lgkmcnt(0)
	v_add_f32_e32 v5, v5, v11
	s_add_i32 s48, s48, 16
	v_add_f32_e32 v5, v5, v13
	s_add_u32 s36, s36, 4
	v_add_f32_e32 v5, v5, v15
	s_addc_u32 s37, s37, 0
	s_cmpk_eq_i32 s36, 0x200
	v_add_f32_e32 v5, v5, v17
	s_cbranch_scc1 .LBB1_156
.LBB1_161:                              ;   Parent Loop BB1_138 Depth=1
                                        ;     Parent Loop BB1_158 Depth=2
                                        ; =>    This Inner Loop Header: Depth=3
	v_cmp_ne_u32_e32 vcc, s36, v16
	s_or_b64 s[42:43], s[20:21], vcc
                                        ; implicit-def: $vgpr11
                                        ; implicit-def: $sgpr38_sgpr39
                                        ; implicit-def: $sgpr40_sgpr41
	s_and_saveexec_b64 s[50:51], s[42:43]
	s_xor_b64 s[42:43], exec, s[50:51]
	s_cbranch_execz .LBB1_163
; %bb.162:                              ;   in Loop: Header=BB1_161 Depth=3
	s_add_u32 s38, s44, s36
	s_addc_u32 s39, s33, s37
	s_add_u32 s40, s38, 0xfffffe01
	s_addc_u32 s41, s39, 0
	;; [unrolled: 2-line block ×3, first 2 shown]
	s_mul_i32 s50, s40, s50
	s_mul_hi_u32 s51, s40, s49
	s_add_i32 s51, s51, s50
	s_mul_i32 s50, s40, s49
	s_lshl_b64 s[50:51], s[50:51], 1
	s_and_b32 s50, s50, -4
	v_lshl_add_u64 v[18:19], v[8:9], 0, s[50:51]
	global_load_dword v11, v[18:19], off
	v_mov_b32_e32 v13, s48
	ds_read_b32 v13, v13
	s_waitcnt vmcnt(0) lgkmcnt(0)
	v_mul_f32_e32 v11, v11, v13
.LBB1_163:                              ;   in Loop: Header=BB1_161 Depth=3
	s_or_saveexec_b64 s[42:43], s[42:43]
	v_mov_b64_e32 v[22:23], s[40:41]
	v_mov_b64_e32 v[18:19], s[38:39]
	s_xor_b64 exec, exec, s[42:43]
	s_cbranch_execz .LBB1_165
; %bb.164:                              ;   in Loop: Header=BB1_161 Depth=3
	v_mov_b32_e32 v11, s48
	ds_read_b32 v11, v11
	s_add_u32 s38, s44, s36
	s_addc_u32 s39, s33, s37
	s_add_u32 s40, s38, 0xfffffe01
	s_addc_u32 s41, s39, 0
	v_mov_b64_e32 v[22:23], s[40:41]
	v_mov_b64_e32 v[18:19], s[38:39]
.LBB1_165:                              ;   in Loop: Header=BB1_161 Depth=3
	s_or_b64 exec, exec, s[42:43]
	v_cmp_ne_u32_e32 vcc, s36, v14
	s_or_b64 s[38:39], s[20:21], vcc
	v_lshl_add_u64 v[20:21], v[18:19], 0, s[22:23]
                                        ; implicit-def: $vgpr13
	s_and_saveexec_b64 s[40:41], s[38:39]
	s_xor_b64 s[38:39], exec, s[40:41]
	s_cbranch_execz .LBB1_167
; %bb.166:                              ;   in Loop: Header=BB1_161 Depth=3
	v_lshl_add_u64 v[20:21], v[18:19], 0, s[22:23]
	v_mad_u64_u32 v[22:23], s[40:41], v20, v22, 0
	v_lshlrev_b64 v[22:23], 1, v[22:23]
	v_and_b32_e32 v22, -4, v22
	v_lshl_add_u64 v[22:23], v[8:9], 0, v[22:23]
	global_load_dword v13, v[22:23], off
	v_mov_b32_e32 v15, s48
	ds_read_b32 v15, v15 offset:4
	s_waitcnt vmcnt(0) lgkmcnt(0)
	v_mul_f32_e32 v13, v13, v15
.LBB1_167:                              ;   in Loop: Header=BB1_161 Depth=3
	s_andn2_saveexec_b64 s[38:39], s[38:39]
; %bb.168:                              ;   in Loop: Header=BB1_161 Depth=3
	v_mov_b32_e32 v13, s48
	ds_read_b32 v13, v13 offset:4
; %bb.169:                              ;   in Loop: Header=BB1_161 Depth=3
	s_or_b64 exec, exec, s[38:39]
	v_cmp_ne_u32_e32 vcc, s36, v12
	s_or_b64 s[38:39], s[20:21], vcc
	v_lshl_add_u64 v[22:23], v[18:19], 0, s[24:25]
                                        ; implicit-def: $vgpr15
	s_and_saveexec_b64 s[40:41], s[38:39]
	s_xor_b64 s[38:39], exec, s[40:41]
	s_cbranch_execz .LBB1_171
; %bb.170:                              ;   in Loop: Header=BB1_161 Depth=3
	v_lshl_add_u64 v[22:23], v[18:19], 0, s[24:25]
	v_mad_u64_u32 v[20:21], s[40:41], v22, v20, 0
	v_lshlrev_b64 v[20:21], 1, v[20:21]
	v_and_b32_e32 v20, -4, v20
	v_lshl_add_u64 v[20:21], v[8:9], 0, v[20:21]
	global_load_dword v15, v[20:21], off
	v_mov_b32_e32 v17, s48
	ds_read_b32 v17, v17 offset:8
	s_waitcnt vmcnt(0) lgkmcnt(0)
	v_mul_f32_e32 v15, v15, v17
.LBB1_171:                              ;   in Loop: Header=BB1_161 Depth=3
	s_andn2_saveexec_b64 s[38:39], s[38:39]
; %bb.172:                              ;   in Loop: Header=BB1_161 Depth=3
	v_mov_b32_e32 v15, s48
	ds_read_b32 v15, v15 offset:8
; %bb.173:                              ;   in Loop: Header=BB1_161 Depth=3
	s_or_b64 exec, exec, s[38:39]
	v_cmp_ne_u32_e32 vcc, s36, v10
	s_or_b64 s[38:39], s[20:21], vcc
                                        ; implicit-def: $vgpr17
	s_and_saveexec_b64 s[40:41], s[38:39]
	s_xor_b64 s[38:39], exec, s[40:41]
	s_cbranch_execz .LBB1_175
; %bb.174:                              ;   in Loop: Header=BB1_161 Depth=3
	v_add_u32_e32 v17, 0xfffffe04, v18
	v_mad_u64_u32 v[18:19], s[40:41], v17, v22, 0
	v_lshlrev_b64 v[18:19], 1, v[18:19]
	v_and_b32_e32 v18, -4, v18
	v_lshl_add_u64 v[18:19], v[8:9], 0, v[18:19]
	global_load_dword v17, v[18:19], off
	v_mov_b32_e32 v18, s48
	ds_read_b32 v18, v18 offset:12
	s_waitcnt vmcnt(0) lgkmcnt(0)
	v_mul_f32_e32 v17, v17, v18
.LBB1_175:                              ;   in Loop: Header=BB1_161 Depth=3
	s_andn2_saveexec_b64 s[38:39], s[38:39]
	s_cbranch_execz .LBB1_160
; %bb.176:                              ;   in Loop: Header=BB1_161 Depth=3
	v_mov_b32_e32 v17, s48
	ds_read_b32 v17, v17 offset:12
	s_branch .LBB1_160
.LBB1_177:                              ;   in Loop: Header=BB1_138 Depth=1
	s_or_b64 exec, exec, s[28:29]
.LBB1_178:                              ;   in Loop: Header=BB1_138 Depth=1
	s_and_saveexec_b64 s[28:29], s[0:1]
	s_cbranch_execz .LBB1_137
; %bb.179:                              ;   in Loop: Header=BB1_138 Depth=1
	ds_read_b32 v8, v24
	v_mad_u64_u32 v[6:7], s[0:1], s6, v4, 0
	v_mov_b32_e32 v2, v7
	v_mad_u64_u32 v[4:5], s[0:1], s7, v4, v[2:3]
	v_mov_b32_e32 v7, v4
	v_lshl_add_u64 v[4:5], v[6:7], 2, s[12:13]
	s_waitcnt lgkmcnt(0)
	global_store_dword v[4:5], v8, off
	s_branch .LBB1_137
.LBB1_180:
	s_endpgm
	.section	.rodata,"a",@progbits
	.p2align	6, 0x0
	.amdhsa_kernel _ZL19rocblas_tpsv_kernelILb0ELi512EPKfPfEv18rocblas_operation_bbiT1_llT2_lll
		.amdhsa_group_segment_fixed_size 4096
		.amdhsa_private_segment_fixed_size 0
		.amdhsa_kernarg_size 72
		.amdhsa_user_sgpr_count 2
		.amdhsa_user_sgpr_dispatch_ptr 0
		.amdhsa_user_sgpr_queue_ptr 0
		.amdhsa_user_sgpr_kernarg_segment_ptr 1
		.amdhsa_user_sgpr_dispatch_id 0
		.amdhsa_user_sgpr_kernarg_preload_length 0
		.amdhsa_user_sgpr_kernarg_preload_offset 0
		.amdhsa_user_sgpr_private_segment_size 0
		.amdhsa_uses_dynamic_stack 0
		.amdhsa_enable_private_segment 0
		.amdhsa_system_sgpr_workgroup_id_x 1
		.amdhsa_system_sgpr_workgroup_id_y 0
		.amdhsa_system_sgpr_workgroup_id_z 0
		.amdhsa_system_sgpr_workgroup_info 0
		.amdhsa_system_vgpr_workitem_id 0
		.amdhsa_next_free_vgpr 26
		.amdhsa_next_free_sgpr 70
		.amdhsa_accum_offset 28
		.amdhsa_reserve_vcc 1
		.amdhsa_float_round_mode_32 0
		.amdhsa_float_round_mode_16_64 0
		.amdhsa_float_denorm_mode_32 3
		.amdhsa_float_denorm_mode_16_64 3
		.amdhsa_dx10_clamp 1
		.amdhsa_ieee_mode 1
		.amdhsa_fp16_overflow 0
		.amdhsa_tg_split 0
		.amdhsa_exception_fp_ieee_invalid_op 0
		.amdhsa_exception_fp_denorm_src 0
		.amdhsa_exception_fp_ieee_div_zero 0
		.amdhsa_exception_fp_ieee_overflow 0
		.amdhsa_exception_fp_ieee_underflow 0
		.amdhsa_exception_fp_ieee_inexact 0
		.amdhsa_exception_int_div_zero 0
	.end_amdhsa_kernel
	.section	.text._ZL19rocblas_tpsv_kernelILb0ELi512EPKfPfEv18rocblas_operation_bbiT1_llT2_lll,"axG",@progbits,_ZL19rocblas_tpsv_kernelILb0ELi512EPKfPfEv18rocblas_operation_bbiT1_llT2_lll,comdat
.Lfunc_end1:
	.size	_ZL19rocblas_tpsv_kernelILb0ELi512EPKfPfEv18rocblas_operation_bbiT1_llT2_lll, .Lfunc_end1-_ZL19rocblas_tpsv_kernelILb0ELi512EPKfPfEv18rocblas_operation_bbiT1_llT2_lll
                                        ; -- End function
	.set _ZL19rocblas_tpsv_kernelILb0ELi512EPKfPfEv18rocblas_operation_bbiT1_llT2_lll.num_vgpr, 26
	.set _ZL19rocblas_tpsv_kernelILb0ELi512EPKfPfEv18rocblas_operation_bbiT1_llT2_lll.num_agpr, 0
	.set _ZL19rocblas_tpsv_kernelILb0ELi512EPKfPfEv18rocblas_operation_bbiT1_llT2_lll.numbered_sgpr, 70
	.set _ZL19rocblas_tpsv_kernelILb0ELi512EPKfPfEv18rocblas_operation_bbiT1_llT2_lll.num_named_barrier, 0
	.set _ZL19rocblas_tpsv_kernelILb0ELi512EPKfPfEv18rocblas_operation_bbiT1_llT2_lll.private_seg_size, 0
	.set _ZL19rocblas_tpsv_kernelILb0ELi512EPKfPfEv18rocblas_operation_bbiT1_llT2_lll.uses_vcc, 1
	.set _ZL19rocblas_tpsv_kernelILb0ELi512EPKfPfEv18rocblas_operation_bbiT1_llT2_lll.uses_flat_scratch, 0
	.set _ZL19rocblas_tpsv_kernelILb0ELi512EPKfPfEv18rocblas_operation_bbiT1_llT2_lll.has_dyn_sized_stack, 0
	.set _ZL19rocblas_tpsv_kernelILb0ELi512EPKfPfEv18rocblas_operation_bbiT1_llT2_lll.has_recursion, 0
	.set _ZL19rocblas_tpsv_kernelILb0ELi512EPKfPfEv18rocblas_operation_bbiT1_llT2_lll.has_indirect_call, 0
	.section	.AMDGPU.csdata,"",@progbits
; Kernel info:
; codeLenInByte = 6744
; TotalNumSgprs: 76
; NumVgprs: 26
; NumAgprs: 0
; TotalNumVgprs: 26
; ScratchSize: 0
; MemoryBound: 0
; FloatMode: 240
; IeeeMode: 1
; LDSByteSize: 4096 bytes/workgroup (compile time only)
; SGPRBlocks: 9
; VGPRBlocks: 3
; NumSGPRsForWavesPerEU: 76
; NumVGPRsForWavesPerEU: 26
; AccumOffset: 28
; Occupancy: 8
; WaveLimiterHint : 0
; COMPUTE_PGM_RSRC2:SCRATCH_EN: 0
; COMPUTE_PGM_RSRC2:USER_SGPR: 2
; COMPUTE_PGM_RSRC2:TRAP_HANDLER: 0
; COMPUTE_PGM_RSRC2:TGID_X_EN: 1
; COMPUTE_PGM_RSRC2:TGID_Y_EN: 0
; COMPUTE_PGM_RSRC2:TGID_Z_EN: 0
; COMPUTE_PGM_RSRC2:TIDIG_COMP_CNT: 0
; COMPUTE_PGM_RSRC3_GFX90A:ACCUM_OFFSET: 6
; COMPUTE_PGM_RSRC3_GFX90A:TG_SPLIT: 0
	.section	.text._ZL19rocblas_tpsv_kernelILb1ELi512EPKdPdEv18rocblas_operation_bbiT1_llT2_lll,"axG",@progbits,_ZL19rocblas_tpsv_kernelILb1ELi512EPKdPdEv18rocblas_operation_bbiT1_llT2_lll,comdat
	.globl	_ZL19rocblas_tpsv_kernelILb1ELi512EPKdPdEv18rocblas_operation_bbiT1_llT2_lll ; -- Begin function _ZL19rocblas_tpsv_kernelILb1ELi512EPKdPdEv18rocblas_operation_bbiT1_llT2_lll
	.p2align	8
	.type	_ZL19rocblas_tpsv_kernelILb1ELi512EPKdPdEv18rocblas_operation_bbiT1_llT2_lll,@function
_ZL19rocblas_tpsv_kernelILb1ELi512EPKdPdEv18rocblas_operation_bbiT1_llT2_lll: ; @_ZL19rocblas_tpsv_kernelILb1ELi512EPKdPdEv18rocblas_operation_bbiT1_llT2_lll
; %bb.0:
	s_load_dwordx2 s[28:29], s[0:1], 0x0
	s_load_dwordx2 s[14:15], s[0:1], 0x4
	;; [unrolled: 1-line block ×3, first 2 shown]
	s_load_dwordx4 s[24:27], s[0:1], 0x18
	s_load_dwordx2 s[12:13], s[0:1], 0x28
	s_waitcnt lgkmcnt(0)
	s_bitcmp1_b32 s29, 0
	s_cselect_b64 s[4:5], -1, 0
	s_xor_b64 s[22:23], s[4:5], -1
	s_bitcmp1_b32 s14, 8
	s_load_dwordx4 s[4:7], s[0:1], 0x30
	s_load_dwordx2 s[16:17], s[0:1], 0x40
	s_mul_i32 s0, s27, s2
	s_mul_hi_u32 s1, s26, s2
	s_cselect_b64 s[8:9], -1, 0
	s_add_i32 s1, s1, s0
	s_mul_i32 s0, s26, s2
	s_lshl_b64 s[20:21], s[0:1], 3
	s_add_u32 s0, s18, s20
	s_addc_u32 s1, s19, s21
	s_lshl_b64 s[24:25], s[24:25], 3
	s_add_u32 s10, s0, s24
	s_addc_u32 s11, s1, s25
	s_waitcnt lgkmcnt(0)
	s_mul_i32 s0, s17, s2
	s_mul_hi_u32 s1, s16, s2
	s_add_i32 s1, s1, s0
	s_mul_i32 s0, s16, s2
	s_lshl_b64 s[0:1], s[0:1], 3
	s_add_u32 s2, s12, s0
	s_addc_u32 s3, s13, s1
	s_lshl_b64 s[0:1], s[4:5], 3
	s_add_u32 s12, s2, s0
	s_addc_u32 s13, s3, s1
	s_cmp_gt_i32 s15, 0
	s_cselect_b64 s[16:17], -1, 0
	s_cmpk_lg_i32 s28, 0x6f
	s_mov_b64 s[0:1], -1
	s_cbranch_scc0 .LBB2_93
; %bb.1:
	s_and_b64 vcc, exec, s[22:23]
	s_cbranch_vccz .LBB2_44
; %bb.2:
	s_andn2_b64 vcc, exec, s[16:17]
	s_cbranch_vccnz .LBB2_43
; %bb.3:
	s_lshl_b32 s4, s15, 1
	s_add_i32 s38, s15, 0xfffffe00
	s_or_b32 s14, s4, 1
	s_add_u32 s2, s20, s24
	v_lshlrev_b32_e32 v2, 3, v0
	s_addc_u32 s3, s21, s25
	v_or_b32_e32 v1, 0x3000, v2
	v_mov_b32_e32 v3, s3
	v_sub_co_u32_e32 v2, vcc, s2, v2
	s_mov_b64 s[0:1], 0xff0
	s_nop 0
	v_subbrev_co_u32_e32 v3, vcc, 0, v3, vcc
	v_lshl_add_u64 v[2:3], s[18:19], 0, v[2:3]
	v_lshl_add_u64 v[2:3], v[2:3], 0, s[0:1]
	s_ashr_i32 s1, s15, 31
	s_mov_b32 s0, s15
	s_lshl_b64 s[0:1], s[0:1], 3
	s_add_u32 s0, s2, s0
	s_addc_u32 s1, s3, s1
	s_add_u32 s0, s18, s0
	v_sub_u32_e32 v4, s15, v0
	s_addc_u32 s1, s19, s1
	v_add_u32_e32 v20, 0x201, v4
	v_add_u32_e32 v4, s15, v0
	s_add_u32 s2, s0, 0xfffff000
	v_add_u32_e32 v21, 0xfffffe00, v4
	v_add_u32_e32 v22, 0xfffffe01, v0
	s_addc_u32 s3, s1, -1
	v_add_u32_e32 v23, 0xfffffc00, v4
	s_ashr_i32 s33, s4, 31
	s_movk_i32 s42, 0x400
	s_movk_i32 s43, 0x401
	s_movk_i32 s44, 0x402
	s_movk_i32 s45, 0x403
	s_mov_b64 s[4:5], 0x1000
	s_mov_b64 s[26:27], 0x200
	s_xor_b64 s[28:29], s[8:9], -1
	s_branch .LBB2_5
.LBB2_4:                                ;   in Loop: Header=BB2_5 Depth=1
	s_or_b64 exec, exec, s[34:35]
	s_add_u32 s2, s2, 0xfffff000
	v_add_u32_e32 v20, 0x200, v20
	v_add_u32_e32 v21, 0xfffffe00, v21
	s_addc_u32 s3, s3, -1
	v_add_u32_e32 v23, 0xfffffe00, v23
	s_andn2_b64 vcc, exec, s[30:31]
	s_mov_b32 s38, s46
	s_barrier
	s_cbranch_vccz .LBB2_43
.LBB2_5:                                ; =>This Loop Header: Depth=1
                                        ;     Child Loop BB2_9 Depth 2
                                        ;     Child Loop BB2_21 Depth 2
                                        ;       Child Loop BB2_24 Depth 3
	v_add_u32_e32 v24, s38, v0
	v_cmp_gt_i32_e32 vcc, 0, v24
	v_cmp_lt_i32_e64 s[0:1], -1, v24
	s_and_saveexec_b64 s[30:31], s[0:1]
	s_cbranch_execz .LBB2_7
; %bb.6:                                ;   in Loop: Header=BB2_5 Depth=1
	v_mad_u64_u32 v[4:5], s[34:35], s6, v24, 0
	v_mov_b32_e32 v6, v5
	v_mad_u64_u32 v[6:7], s[34:35], s7, v24, v[6:7]
	v_mov_b32_e32 v5, v6
	v_lshl_add_u64 v[4:5], v[4:5], 3, s[12:13]
	global_load_dwordx2 v[4:5], v[4:5], off
	s_waitcnt vmcnt(0)
	ds_write_b64 v1, v[4:5]
.LBB2_7:                                ;   in Loop: Header=BB2_5 Depth=1
	s_or_b64 exec, exec, s[30:31]
	v_mad_u64_u32 v[4:5], s[30:31], v20, v21, 0
	v_ashrrev_i32_e32 v7, 31, v20
	v_mov_b32_e32 v6, v5
	v_mad_u64_u32 v[6:7], s[30:31], v7, v21, v[6:7]
	v_mov_b32_e32 v5, v6
	s_not_b32 s30, s38
	v_sub_u32_e32 v6, s14, v24
	v_max_i32_e32 v8, s30, v0
	v_ashrrev_i32_e32 v9, 31, v6
	v_mad_u64_u32 v[6:7], s[30:31], v6, v24, 0
	v_mov_b32_e32 v10, v7
	v_mad_u64_u32 v[10:11], s[30:31], v9, v24, v[10:11]
	v_mov_b32_e32 v7, v10
	v_lshlrev_b64 v[4:5], 2, v[4:5]
	v_lshlrev_b64 v[6:7], 2, v[6:7]
	v_and_b32_e32 v4, -8, v4
	v_and_b32_e32 v6, -8, v6
	s_or_b64 s[30:31], vcc, s[8:9]
	v_lshl_add_u64 v[4:5], v[2:3], 0, v[4:5]
	v_lshl_add_u64 v[6:7], s[10:11], 0, v[6:7]
	s_movk_i32 s39, 0x1ff
	s_movk_i32 s40, 0x3ff0
	s_xor_b64 s[30:31], s[30:31], -1
	s_xor_b64 s[34:35], vcc, -1
	v_mov_b32_e32 v9, v22
	s_waitcnt lgkmcnt(0)
	s_barrier
	s_branch .LBB2_9
.LBB2_8:                                ;   in Loop: Header=BB2_9 Depth=2
	s_or_b64 exec, exec, s[36:37]
	s_add_i32 s39, s39, -2
	s_add_i32 s40, s40, -16
	v_lshl_add_u64 v[4:5], v[4:5], 0, -16
	s_cmp_eq_u32 s41, 0
	v_add_u32_e32 v9, 2, v9
	s_cbranch_scc1 .LBB2_17
.LBB2_9:                                ;   Parent Loop BB2_5 Depth=1
                                        ; =>  This Inner Loop Header: Depth=2
	v_cmp_eq_u32_e32 vcc, 0, v9
	s_and_b64 s[46:47], vcc, s[30:31]
	s_and_saveexec_b64 s[36:37], s[46:47]
	s_cbranch_execz .LBB2_11
; %bb.10:                               ;   in Loop: Header=BB2_9 Depth=2
	global_load_dwordx2 v[10:11], v[6:7], off
	ds_read_b64 v[12:13], v1
	s_waitcnt vmcnt(0) lgkmcnt(0)
	v_div_scale_f64 v[14:15], s[46:47], v[10:11], v[10:11], v[12:13]
	v_rcp_f64_e32 v[16:17], v[14:15]
	v_div_scale_f64 v[18:19], vcc, v[12:13], v[10:11], v[12:13]
	v_fma_f64 v[26:27], -v[14:15], v[16:17], 1.0
	v_fmac_f64_e32 v[16:17], v[16:17], v[26:27]
	v_fma_f64 v[26:27], -v[14:15], v[16:17], 1.0
	v_fmac_f64_e32 v[16:17], v[16:17], v[26:27]
	v_mul_f64 v[26:27], v[18:19], v[16:17]
	v_fma_f64 v[14:15], -v[14:15], v[26:27], v[18:19]
	v_div_fmas_f64 v[14:15], v[14:15], v[16:17], v[26:27]
	v_div_fixup_f64 v[10:11], v[14:15], v[10:11], v[12:13]
	ds_write_b64 v1, v[10:11]
.LBB2_11:                               ;   in Loop: Header=BB2_9 Depth=2
	s_or_b64 exec, exec, s[36:37]
	v_cmp_gt_u32_e32 vcc, s39, v8
	s_and_b64 s[46:47], s[34:35], vcc
	s_waitcnt lgkmcnt(0)
	s_barrier
	s_and_saveexec_b64 s[36:37], s[46:47]
	s_cbranch_execz .LBB2_13
; %bb.12:                               ;   in Loop: Header=BB2_9 Depth=2
	global_load_dwordx2 v[10:11], v[4:5], off offset:8
	v_mov_b32_e32 v12, s40
	ds_read_b64 v[12:13], v12 offset:8
	ds_read_b64 v[14:15], v1
	s_waitcnt vmcnt(0) lgkmcnt(0)
	v_fma_f64 v[10:11], -v[10:11], v[12:13], v[14:15]
	ds_write_b64 v1, v[10:11]
.LBB2_13:                               ;   in Loop: Header=BB2_9 Depth=2
	s_or_b64 exec, exec, s[36:37]
	s_add_i32 s41, s39, -1
	v_cmp_eq_u32_e32 vcc, s41, v0
	s_and_b64 s[46:47], vcc, s[30:31]
	s_and_saveexec_b64 s[36:37], s[46:47]
	s_cbranch_execz .LBB2_15
; %bb.14:                               ;   in Loop: Header=BB2_9 Depth=2
	global_load_dwordx2 v[10:11], v[6:7], off
	ds_read_b64 v[12:13], v1
	s_waitcnt vmcnt(0) lgkmcnt(0)
	v_div_scale_f64 v[14:15], s[46:47], v[10:11], v[10:11], v[12:13]
	v_rcp_f64_e32 v[16:17], v[14:15]
	v_div_scale_f64 v[18:19], vcc, v[12:13], v[10:11], v[12:13]
	v_fma_f64 v[26:27], -v[14:15], v[16:17], 1.0
	v_fmac_f64_e32 v[16:17], v[16:17], v[26:27]
	v_fma_f64 v[26:27], -v[14:15], v[16:17], 1.0
	v_fmac_f64_e32 v[16:17], v[16:17], v[26:27]
	v_mul_f64 v[26:27], v[18:19], v[16:17]
	v_fma_f64 v[14:15], -v[14:15], v[26:27], v[18:19]
	v_div_fmas_f64 v[14:15], v[14:15], v[16:17], v[26:27]
	v_div_fixup_f64 v[10:11], v[14:15], v[10:11], v[12:13]
	ds_write_b64 v1, v[10:11]
.LBB2_15:                               ;   in Loop: Header=BB2_9 Depth=2
	s_or_b64 exec, exec, s[36:37]
	v_cmp_gt_u32_e32 vcc, s41, v8
	s_and_b64 s[46:47], s[34:35], vcc
	s_waitcnt lgkmcnt(0)
	s_barrier
	s_and_saveexec_b64 s[36:37], s[46:47]
	s_cbranch_execz .LBB2_8
; %bb.16:                               ;   in Loop: Header=BB2_9 Depth=2
	global_load_dwordx2 v[10:11], v[4:5], off
	v_mov_b32_e32 v12, s40
	ds_read_b64 v[12:13], v12
	ds_read_b64 v[14:15], v1
	s_waitcnt vmcnt(0) lgkmcnt(0)
	v_fma_f64 v[10:11], -v[10:11], v[12:13], v[14:15]
	ds_write_b64 v1, v[10:11]
	s_branch .LBB2_8
.LBB2_17:                               ;   in Loop: Header=BB2_5 Depth=1
	s_add_i32 s46, s38, 0xfffffe00
	s_cmp_lt_i32 s38, 1
	s_cselect_b64 s[30:31], -1, 0
	s_and_b64 vcc, exec, s[30:31]
	s_waitcnt lgkmcnt(0)
	s_barrier
	s_cbranch_vccnz .LBB2_41
; %bb.18:                               ;   in Loop: Header=BB2_5 Depth=1
	v_ashrrev_i32_e32 v7, 31, v23
	v_mad_i64_i32 v[4:5], s[34:35], v23, -8, s[2:3]
	v_mov_b32_e32 v8, s33
	v_sub_co_u32_e32 v6, vcc, s14, v23
	s_mov_b64 s[34:35], 0
	s_nop 0
	v_subb_co_u32_e32 v7, vcc, v8, v7, vcc
	v_mov_b32_e32 v25, v23
	v_mov_b32_e32 v26, v0
	s_mov_b32 s47, s46
                                        ; implicit-def: $sgpr36_sgpr37
	s_branch .LBB2_21
.LBB2_19:                               ;   in Loop: Header=BB2_21 Depth=2
	v_mad_u64_u32 v[10:11], s[40:41], s6, v27, 0
	v_mov_b32_e32 v12, v11
	v_mad_u64_u32 v[12:13], s[40:41], s7, v27, v[12:13]
	v_mov_b32_e32 v11, v12
	v_lshl_add_u64 v[10:11], v[10:11], 3, s[12:13]
	global_load_dwordx2 v[12:13], v[10:11], off
	s_add_i32 s48, s47, 0xfffffe00
	s_cmp_lt_i32 s47, 1
	s_cselect_b64 s[40:41], -1, 0
	s_andn2_b64 s[36:37], s[36:37], exec
	s_and_b64 s[40:41], s[40:41], exec
	v_add_u32_e32 v26, 0xfffffe00, v26
	v_lshl_add_u64 v[4:5], v[4:5], 0, s[4:5]
	v_lshl_add_u64 v[6:7], v[6:7], 0, s[26:27]
	v_add_u32_e32 v25, 0xfffffe00, v25
	s_or_b64 s[36:37], s[36:37], s[40:41]
	s_mov_b32 s47, s48
	s_waitcnt vmcnt(0)
	v_add_f64 v[8:9], v[12:13], -v[8:9]
	global_store_dwordx2 v[10:11], v[8:9], off
.LBB2_20:                               ;   in Loop: Header=BB2_21 Depth=2
	s_or_b64 exec, exec, s[38:39]
	s_and_b64 s[38:39], exec, s[36:37]
	s_or_b64 s[34:35], s[38:39], s[34:35]
	s_andn2_b64 exec, exec, s[34:35]
	s_cbranch_execz .LBB2_40
.LBB2_21:                               ;   Parent Loop BB2_5 Depth=1
                                        ; =>  This Loop Header: Depth=2
                                        ;       Child Loop BB2_24 Depth 3
	v_add_u32_e32 v27, s47, v0
	v_cmp_lt_i32_e32 vcc, -1, v27
	s_or_b64 s[36:37], s[36:37], exec
	s_and_saveexec_b64 s[38:39], vcc
	s_cbranch_execz .LBB2_20
; %bb.22:                               ;   in Loop: Header=BB2_21 Depth=2
	v_mad_u64_u32 v[8:9], s[40:41], v6, v25, 0
	v_mov_b32_e32 v10, v9
	v_mad_u64_u32 v[10:11], s[40:41], v7, v25, v[10:11]
	v_mov_b32_e32 v9, v10
	v_lshlrev_b64 v[8:9], 2, v[8:9]
	v_and_b32_e32 v8, -8, v8
	v_lshl_add_u64 v[10:11], v[4:5], 0, v[8:9]
	v_mov_b64_e32 v[8:9], 0
	s_movk_i32 s48, 0x3000
	s_movk_i32 s49, 0x200
	s_branch .LBB2_24
.LBB2_23:                               ;   in Loop: Header=BB2_24 Depth=3
	s_or_b64 exec, exec, s[40:41]
	s_waitcnt lgkmcnt(0)
	v_add_f64 v[8:9], v[8:9], v[12:13]
	v_add_f64 v[8:9], v[8:9], v[14:15]
	v_add_f64 v[8:9], v[8:9], v[16:17]
	s_add_i32 s48, s48, 32
	s_add_i32 s49, s49, -4
	v_add_f64 v[8:9], v[8:9], v[18:19]
	s_cmp_eq_u32 s49, 0
	v_lshl_add_u64 v[10:11], v[10:11], 0, 32
	s_cbranch_scc1 .LBB2_19
.LBB2_24:                               ;   Parent Loop BB2_5 Depth=1
                                        ;     Parent Loop BB2_21 Depth=2
                                        ; =>    This Inner Loop Header: Depth=3
	v_add_u32_e32 v18, s49, v26
	v_cmp_ne_u32_e32 vcc, s42, v18
	s_or_b64 s[40:41], s[28:29], vcc
                                        ; implicit-def: $vgpr12_vgpr13
	s_and_saveexec_b64 s[50:51], s[40:41]
	s_xor_b64 s[40:41], exec, s[50:51]
	s_cbranch_execz .LBB2_26
; %bb.25:                               ;   in Loop: Header=BB2_24 Depth=3
	global_load_dwordx2 v[12:13], v[10:11], off
	v_mov_b32_e32 v14, s48
	ds_read_b64 v[14:15], v14
	s_waitcnt vmcnt(0) lgkmcnt(0)
	v_mul_f64 v[12:13], v[12:13], v[14:15]
.LBB2_26:                               ;   in Loop: Header=BB2_24 Depth=3
	s_andn2_saveexec_b64 s[40:41], s[40:41]
; %bb.27:                               ;   in Loop: Header=BB2_24 Depth=3
	v_mov_b32_e32 v12, s48
	ds_read_b64 v[12:13], v12
; %bb.28:                               ;   in Loop: Header=BB2_24 Depth=3
	s_or_b64 exec, exec, s[40:41]
	v_cmp_ne_u32_e32 vcc, s43, v18
	s_or_b64 s[40:41], s[28:29], vcc
                                        ; implicit-def: $vgpr14_vgpr15
	s_and_saveexec_b64 s[50:51], s[40:41]
	s_xor_b64 s[40:41], exec, s[50:51]
	s_cbranch_execz .LBB2_30
; %bb.29:                               ;   in Loop: Header=BB2_24 Depth=3
	global_load_dwordx2 v[14:15], v[10:11], off offset:8
	v_mov_b32_e32 v16, s48
	ds_read_b64 v[16:17], v16 offset:8
	s_waitcnt vmcnt(0) lgkmcnt(0)
	v_mul_f64 v[14:15], v[14:15], v[16:17]
.LBB2_30:                               ;   in Loop: Header=BB2_24 Depth=3
	s_andn2_saveexec_b64 s[40:41], s[40:41]
; %bb.31:                               ;   in Loop: Header=BB2_24 Depth=3
	v_mov_b32_e32 v14, s48
	ds_read_b64 v[14:15], v14 offset:8
; %bb.32:                               ;   in Loop: Header=BB2_24 Depth=3
	s_or_b64 exec, exec, s[40:41]
	v_cmp_ne_u32_e32 vcc, s44, v18
	s_or_b64 s[40:41], s[28:29], vcc
                                        ; implicit-def: $vgpr16_vgpr17
	s_and_saveexec_b64 s[50:51], s[40:41]
	s_xor_b64 s[40:41], exec, s[50:51]
	s_cbranch_execz .LBB2_34
; %bb.33:                               ;   in Loop: Header=BB2_24 Depth=3
	global_load_dwordx2 v[16:17], v[10:11], off offset:16
	v_mov_b32_e32 v19, s48
	ds_read_b64 v[28:29], v19 offset:16
	s_waitcnt vmcnt(0) lgkmcnt(0)
	v_mul_f64 v[16:17], v[16:17], v[28:29]
.LBB2_34:                               ;   in Loop: Header=BB2_24 Depth=3
	s_andn2_saveexec_b64 s[40:41], s[40:41]
; %bb.35:                               ;   in Loop: Header=BB2_24 Depth=3
	v_mov_b32_e32 v16, s48
	ds_read_b64 v[16:17], v16 offset:16
; %bb.36:                               ;   in Loop: Header=BB2_24 Depth=3
	s_or_b64 exec, exec, s[40:41]
	v_cmp_ne_u32_e32 vcc, s45, v18
	s_or_b64 s[40:41], s[28:29], vcc
                                        ; implicit-def: $vgpr18_vgpr19
	s_and_saveexec_b64 s[50:51], s[40:41]
	s_xor_b64 s[40:41], exec, s[50:51]
	s_cbranch_execz .LBB2_38
; %bb.37:                               ;   in Loop: Header=BB2_24 Depth=3
	global_load_dwordx2 v[18:19], v[10:11], off offset:24
	v_mov_b32_e32 v28, s48
	ds_read_b64 v[28:29], v28 offset:24
	s_waitcnt vmcnt(0) lgkmcnt(0)
	v_mul_f64 v[18:19], v[18:19], v[28:29]
.LBB2_38:                               ;   in Loop: Header=BB2_24 Depth=3
	s_andn2_saveexec_b64 s[40:41], s[40:41]
	s_cbranch_execz .LBB2_23
; %bb.39:                               ;   in Loop: Header=BB2_24 Depth=3
	v_mov_b32_e32 v18, s48
	ds_read_b64 v[18:19], v18 offset:24
	s_branch .LBB2_23
.LBB2_40:                               ;   in Loop: Header=BB2_5 Depth=1
	s_or_b64 exec, exec, s[34:35]
.LBB2_41:                               ;   in Loop: Header=BB2_5 Depth=1
	s_and_saveexec_b64 s[34:35], s[0:1]
	s_cbranch_execz .LBB2_4
; %bb.42:                               ;   in Loop: Header=BB2_5 Depth=1
	ds_read_b64 v[4:5], v1
	v_mad_u64_u32 v[6:7], s[0:1], s6, v24, 0
	v_mov_b32_e32 v8, v7
	v_mad_u64_u32 v[8:9], s[0:1], s7, v24, v[8:9]
	v_mov_b32_e32 v7, v8
	v_lshl_add_u64 v[6:7], v[6:7], 3, s[12:13]
	s_waitcnt lgkmcnt(0)
	global_store_dwordx2 v[6:7], v[4:5], off
	s_branch .LBB2_4
.LBB2_43:
	s_mov_b64 s[0:1], 0
.LBB2_44:
	s_andn2_b64 vcc, exec, s[0:1]
	s_cbranch_vccnz .LBB2_92
; %bb.45:
	s_andn2_b64 vcc, exec, s[16:17]
	s_cbranch_vccnz .LBB2_92
; %bb.46:
	v_mov_b32_e32 v1, 0x1000
	v_mov_b32_e32 v3, 0
	v_lshl_or_b32 v16, v0, 3, v1
	v_mov_b32_e32 v1, v3
	v_mad_u64_u32 v[4:5], s[0:1], v0, v0, v[0:1]
	v_lshlrev_b32_e32 v2, 10, v0
	s_mov_b64 s[0:1], 0x40200
	v_lshl_add_u64 v[6:7], v[2:3], 0, s[0:1]
	v_or_b32_e32 v2, 0x200, v0
	s_mov_b32 s14, 0
	v_add_u32_e32 v1, 0x201, v0
	s_xor_b64 s[4:5], s[8:9], -1
	s_mov_b64 s[26:27], 0x200
	s_mov_b64 s[28:29], 0x80000
	v_mov_b64_e32 v[8:9], v[2:3]
	s_mov_b64 s[30:31], s[10:11]
	s_branch .LBB2_48
.LBB2_47:                               ;   in Loop: Header=BB2_48 Depth=1
	s_or_b64 exec, exec, s[34:35]
	s_add_u32 s30, s30, 0x1000
	v_lshl_add_u64 v[10:11], v[6:7], 0, s[28:29]
	s_addc_u32 s31, s31, 0
	v_lshl_add_u64 v[4:5], v[4:5], 0, v[6:7]
	v_lshl_add_u64 v[8:9], v[8:9], 0, s[26:27]
	v_add_u32_e32 v1, 0x200, v1
	s_and_b64 vcc, exec, s[2:3]
	v_mov_b64_e32 v[6:7], v[10:11]
	s_mov_b32 s14, s33
	s_barrier
	s_cbranch_vccnz .LBB2_92
.LBB2_48:                               ; =>This Loop Header: Depth=1
                                        ;     Child Loop BB2_52 Depth 2
                                        ;     Child Loop BB2_66 Depth 2
                                        ;       Child Loop BB2_69 Depth 3
	v_add_u32_e32 v17, s14, v0
	v_cmp_le_i32_e32 vcc, s15, v17
	v_cmp_gt_i32_e64 s[0:1], s15, v17
	s_and_saveexec_b64 s[2:3], s[0:1]
	s_cbranch_execz .LBB2_50
; %bb.49:                               ;   in Loop: Header=BB2_48 Depth=1
	v_mad_u64_u32 v[10:11], s[34:35], s6, v17, 0
	v_mov_b32_e32 v2, v11
	v_mad_u64_u32 v[12:13], s[34:35], s7, v17, v[2:3]
	v_mov_b32_e32 v11, v12
	v_lshl_add_u64 v[10:11], v[10:11], 3, s[12:13]
	global_load_dwordx2 v[10:11], v[10:11], off
	s_waitcnt vmcnt(0)
	ds_write_b64 v16, v[10:11]
.LBB2_50:                               ;   in Loop: Header=BB2_48 Depth=1
	s_or_b64 exec, exec, s[2:3]
	v_or_b32_e32 v2, s14, v0
	v_add_u32_e32 v12, 1, v2
	v_mad_u64_u32 v[12:13], s[34:35], v12, v2, 0
	v_lshlrev_b64 v[12:13], 2, v[12:13]
	v_lshlrev_b64 v[10:11], 2, v[4:5]
	v_and_b32_e32 v12, -8, v12
	v_and_b32_e32 v10, -8, v10
	v_lshl_add_u64 v[12:13], s[10:11], 0, v[12:13]
	v_lshl_add_u64 v[10:11], s[30:31], 0, v[10:11]
	v_cmp_le_i32_e64 s[2:3], s15, v2
	v_lshl_add_u64 v[12:13], v[2:3], 3, v[12:13]
	s_mov_b32 s38, 0
	s_movk_i32 s33, 0x1000
	s_xor_b64 s[34:35], vcc, -1
	s_waitcnt lgkmcnt(0)
	s_barrier
	s_branch .LBB2_52
.LBB2_51:                               ;   in Loop: Header=BB2_52 Depth=2
	s_or_b64 exec, exec, s[36:37]
	s_add_i32 s33, s33, 16
	s_add_i32 s38, s39, 1
	s_cmpk_eq_i32 s38, 0x200
	v_lshl_add_u64 v[10:11], v[10:11], 0, 16
	s_cbranch_scc1 .LBB2_62
.LBB2_52:                               ;   Parent Loop BB2_48 Depth=1
                                        ; =>  This Inner Loop Header: Depth=2
	v_cmp_ne_u32_e32 vcc, s38, v0
	s_or_b64 s[36:37], s[8:9], vcc
	s_nor_b64 s[40:41], s[36:37], s[2:3]
	s_and_saveexec_b64 s[36:37], s[40:41]
	s_cbranch_execz .LBB2_54
; %bb.53:                               ;   in Loop: Header=BB2_52 Depth=2
	global_load_dwordx2 v[14:15], v[12:13], off
	ds_read_b64 v[18:19], v16
	s_waitcnt vmcnt(0) lgkmcnt(0)
	v_div_scale_f64 v[20:21], s[40:41], v[14:15], v[14:15], v[18:19]
	v_rcp_f64_e32 v[22:23], v[20:21]
	v_div_scale_f64 v[24:25], vcc, v[18:19], v[14:15], v[18:19]
	v_fma_f64 v[26:27], -v[20:21], v[22:23], 1.0
	v_fmac_f64_e32 v[22:23], v[22:23], v[26:27]
	v_fma_f64 v[26:27], -v[20:21], v[22:23], 1.0
	v_fmac_f64_e32 v[22:23], v[22:23], v[26:27]
	v_mul_f64 v[26:27], v[24:25], v[22:23]
	v_fma_f64 v[20:21], -v[20:21], v[26:27], v[24:25]
	v_div_fmas_f64 v[20:21], v[20:21], v[22:23], v[26:27]
	v_div_fixup_f64 v[14:15], v[20:21], v[14:15], v[18:19]
	ds_write_b64 v16, v[14:15]
.LBB2_54:                               ;   in Loop: Header=BB2_52 Depth=2
	s_or_b64 exec, exec, s[36:37]
	v_cmp_lt_u32_e32 vcc, s38, v0
	s_waitcnt lgkmcnt(0)
	s_barrier
	s_and_saveexec_b64 s[36:37], vcc
	s_cbranch_execz .LBB2_57
; %bb.55:                               ;   in Loop: Header=BB2_52 Depth=2
	s_add_i32 s39, s14, s38
	s_cmp_lt_i32 s39, s15
	s_cselect_b64 s[40:41], -1, 0
	s_and_b64 s[40:41], s[34:35], s[40:41]
	s_and_b64 exec, exec, s[40:41]
	s_cbranch_execz .LBB2_57
; %bb.56:                               ;   in Loop: Header=BB2_52 Depth=2
	global_load_dwordx2 v[14:15], v[10:11], off
	v_mov_b32_e32 v2, s33
	ds_read_b64 v[18:19], v2
	ds_read_b64 v[20:21], v16
	s_waitcnt vmcnt(0) lgkmcnt(0)
	v_fma_f64 v[14:15], -v[14:15], v[18:19], v[20:21]
	ds_write_b64 v16, v[14:15]
.LBB2_57:                               ;   in Loop: Header=BB2_52 Depth=2
	s_or_b64 exec, exec, s[36:37]
	s_add_i32 s39, s38, 1
	v_cmp_ne_u32_e32 vcc, s39, v0
	s_or_b64 s[36:37], s[8:9], vcc
	s_nor_b64 s[40:41], s[36:37], s[2:3]
	s_and_saveexec_b64 s[36:37], s[40:41]
	s_cbranch_execz .LBB2_59
; %bb.58:                               ;   in Loop: Header=BB2_52 Depth=2
	global_load_dwordx2 v[14:15], v[12:13], off
	ds_read_b64 v[18:19], v16
	s_waitcnt vmcnt(0) lgkmcnt(0)
	v_div_scale_f64 v[20:21], s[40:41], v[14:15], v[14:15], v[18:19]
	v_rcp_f64_e32 v[22:23], v[20:21]
	v_div_scale_f64 v[24:25], vcc, v[18:19], v[14:15], v[18:19]
	v_fma_f64 v[26:27], -v[20:21], v[22:23], 1.0
	v_fmac_f64_e32 v[22:23], v[22:23], v[26:27]
	v_fma_f64 v[26:27], -v[20:21], v[22:23], 1.0
	v_fmac_f64_e32 v[22:23], v[22:23], v[26:27]
	v_mul_f64 v[26:27], v[24:25], v[22:23]
	v_fma_f64 v[20:21], -v[20:21], v[26:27], v[24:25]
	v_div_fmas_f64 v[20:21], v[20:21], v[22:23], v[26:27]
	v_div_fixup_f64 v[14:15], v[20:21], v[14:15], v[18:19]
	ds_write_b64 v16, v[14:15]
.LBB2_59:                               ;   in Loop: Header=BB2_52 Depth=2
	s_or_b64 exec, exec, s[36:37]
	v_cmp_lt_u32_e32 vcc, s39, v0
	s_waitcnt lgkmcnt(0)
	s_barrier
	s_and_saveexec_b64 s[36:37], vcc
	s_cbranch_execz .LBB2_51
; %bb.60:                               ;   in Loop: Header=BB2_52 Depth=2
	s_add_i32 s38, s14, s38
	s_add_i32 s38, s38, 1
	s_cmp_lt_i32 s38, s15
	s_cselect_b64 s[40:41], -1, 0
	s_and_b64 s[40:41], s[34:35], s[40:41]
	s_and_b64 exec, exec, s[40:41]
	s_cbranch_execz .LBB2_51
; %bb.61:                               ;   in Loop: Header=BB2_52 Depth=2
	global_load_dwordx2 v[14:15], v[10:11], off offset:8
	v_mov_b32_e32 v2, s33
	ds_read_b64 v[18:19], v2 offset:8
	ds_read_b64 v[20:21], v16
	s_waitcnt vmcnt(0) lgkmcnt(0)
	v_fma_f64 v[14:15], -v[14:15], v[18:19], v[20:21]
	ds_write_b64 v16, v[14:15]
	s_branch .LBB2_51
.LBB2_62:                               ;   in Loop: Header=BB2_48 Depth=1
	s_add_i32 s33, s14, 0x200
	s_cmp_ge_i32 s33, s15
	s_cselect_b64 s[2:3], -1, 0
	s_and_b64 vcc, exec, s[2:3]
	s_waitcnt lgkmcnt(0)
	s_barrier
	s_cbranch_vccnz .LBB2_90
; %bb.63:                               ;   in Loop: Header=BB2_48 Depth=1
	s_mov_b64 s[34:35], 0
	v_mov_b32_e32 v2, v1
	v_mov_b64_e32 v[10:11], v[8:9]
	v_mov_b32_e32 v18, v0
	s_mov_b32 s42, s33
                                        ; implicit-def: $sgpr36_sgpr37
	s_branch .LBB2_66
.LBB2_64:                               ;   in Loop: Header=BB2_66 Depth=2
	v_mad_u64_u32 v[14:15], s[40:41], s6, v19, 0
	v_mov_b32_e32 v20, v15
	v_mad_u64_u32 v[20:21], s[40:41], s7, v19, v[20:21]
	v_mov_b32_e32 v15, v20
	v_lshl_add_u64 v[14:15], v[14:15], 3, s[12:13]
	global_load_dwordx2 v[20:21], v[14:15], off
	s_addk_i32 s42, 0x200
	s_cmp_ge_i32 s42, s15
	s_cselect_b64 s[40:41], -1, 0
	s_andn2_b64 s[36:37], s[36:37], exec
	s_and_b64 s[40:41], s[40:41], exec
	v_lshl_add_u64 v[10:11], v[10:11], 0, s[26:27]
	v_add_u32_e32 v2, 0x200, v2
	s_or_b64 s[36:37], s[36:37], s[40:41]
	s_waitcnt vmcnt(0)
	v_add_f64 v[12:13], v[20:21], -v[12:13]
	global_store_dwordx2 v[14:15], v[12:13], off
.LBB2_65:                               ;   in Loop: Header=BB2_66 Depth=2
	s_or_b64 exec, exec, s[38:39]
	s_and_b64 s[38:39], exec, s[36:37]
	s_or_b64 s[34:35], s[38:39], s[34:35]
	s_andn2_b64 exec, exec, s[34:35]
	s_cbranch_execz .LBB2_89
.LBB2_66:                               ;   Parent Loop BB2_48 Depth=1
                                        ; =>  This Loop Header: Depth=2
                                        ;       Child Loop BB2_69 Depth 3
	v_add_u32_e32 v19, s42, v0
	v_cmp_gt_i32_e32 vcc, s15, v19
	s_or_b64 s[36:37], s[36:37], exec
	s_and_saveexec_b64 s[38:39], vcc
	s_cbranch_execz .LBB2_65
; %bb.67:                               ;   in Loop: Header=BB2_66 Depth=2
	v_mad_u64_u32 v[12:13], s[40:41], v10, v2, 0
	v_mov_b32_e32 v14, v13
	v_mad_u64_u32 v[14:15], s[40:41], v11, v2, v[14:15]
	v_mov_b32_e32 v13, v14
	v_lshlrev_b64 v[12:13], 2, v[12:13]
	v_and_b32_e32 v12, -8, v12
	v_lshl_add_u64 v[14:15], s[30:31], 0, v[12:13]
	v_add_u32_e32 v20, 0x1fd, v18
	v_add_u32_e32 v21, 0x1fe, v18
	;; [unrolled: 1-line block ×4, first 2 shown]
	v_mov_b64_e32 v[12:13], 0
	s_mov_b32 s43, 0
	s_movk_i32 s44, 0x1000
	s_branch .LBB2_69
.LBB2_68:                               ;   in Loop: Header=BB2_69 Depth=3
	s_or_b64 exec, exec, s[40:41]
	s_add_i32 s43, s43, 4
	s_add_i32 s44, s44, 32
	s_cmpk_eq_i32 s43, 0x200
	v_lshl_add_u64 v[14:15], v[14:15], 0, 32
	s_cbranch_scc1 .LBB2_64
.LBB2_69:                               ;   Parent Loop BB2_48 Depth=1
                                        ;     Parent Loop BB2_66 Depth=2
                                        ; =>    This Inner Loop Header: Depth=3
	v_cmp_ne_u32_e32 vcc, s43, v18
	s_add_i32 s45, s14, s43
	s_or_b64 s[40:41], s[4:5], vcc
	s_and_saveexec_b64 s[46:47], s[40:41]
	s_xor_b64 s[40:41], exec, s[46:47]
	s_cbranch_execz .LBB2_72
; %bb.70:                               ;   in Loop: Header=BB2_69 Depth=3
	s_cmp_ge_i32 s45, s15
	s_cbranch_scc1 .LBB2_72
; %bb.71:                               ;   in Loop: Header=BB2_69 Depth=3
	global_load_dwordx2 v[24:25], v[14:15], off
	v_mov_b32_e32 v23, s44
	ds_read_b64 v[26:27], v23
	s_waitcnt vmcnt(0) lgkmcnt(0)
	v_fmac_f64_e32 v[12:13], v[24:25], v[26:27]
.LBB2_72:                               ;   in Loop: Header=BB2_69 Depth=3
	s_andn2_saveexec_b64 s[40:41], s[40:41]
	s_cbranch_execz .LBB2_74
; %bb.73:                               ;   in Loop: Header=BB2_69 Depth=3
	v_mov_b32_e32 v23, s44
	ds_read_b64 v[24:25], v23
	s_waitcnt lgkmcnt(0)
	v_add_f64 v[12:13], v[12:13], v[24:25]
.LBB2_74:                               ;   in Loop: Header=BB2_69 Depth=3
	s_or_b64 exec, exec, s[40:41]
	v_cmp_ne_u32_e32 vcc, s43, v22
	s_or_b64 s[40:41], s[4:5], vcc
	s_and_saveexec_b64 s[46:47], s[40:41]
	s_xor_b64 s[40:41], exec, s[46:47]
	s_cbranch_execz .LBB2_77
; %bb.75:                               ;   in Loop: Header=BB2_69 Depth=3
	s_add_i32 s46, s45, 1
	s_cmp_ge_i32 s46, s15
	s_cbranch_scc1 .LBB2_77
; %bb.76:                               ;   in Loop: Header=BB2_69 Depth=3
	global_load_dwordx2 v[24:25], v[14:15], off offset:8
	v_mov_b32_e32 v23, s44
	ds_read_b64 v[26:27], v23 offset:8
	s_waitcnt vmcnt(0) lgkmcnt(0)
	v_fmac_f64_e32 v[12:13], v[24:25], v[26:27]
.LBB2_77:                               ;   in Loop: Header=BB2_69 Depth=3
	s_andn2_saveexec_b64 s[40:41], s[40:41]
	s_cbranch_execz .LBB2_79
; %bb.78:                               ;   in Loop: Header=BB2_69 Depth=3
	v_mov_b32_e32 v23, s44
	ds_read_b64 v[24:25], v23 offset:8
	s_waitcnt lgkmcnt(0)
	v_add_f64 v[12:13], v[12:13], v[24:25]
.LBB2_79:                               ;   in Loop: Header=BB2_69 Depth=3
	s_or_b64 exec, exec, s[40:41]
	v_cmp_ne_u32_e32 vcc, s43, v21
	s_or_b64 s[40:41], s[4:5], vcc
	s_and_saveexec_b64 s[46:47], s[40:41]
	s_xor_b64 s[40:41], exec, s[46:47]
	s_cbranch_execz .LBB2_82
; %bb.80:                               ;   in Loop: Header=BB2_69 Depth=3
	s_add_i32 s46, s45, 2
	s_cmp_ge_i32 s46, s15
	s_cbranch_scc1 .LBB2_82
; %bb.81:                               ;   in Loop: Header=BB2_69 Depth=3
	global_load_dwordx2 v[24:25], v[14:15], off offset:16
	v_mov_b32_e32 v23, s44
	ds_read_b64 v[26:27], v23 offset:16
	s_waitcnt vmcnt(0) lgkmcnt(0)
	v_fmac_f64_e32 v[12:13], v[24:25], v[26:27]
.LBB2_82:                               ;   in Loop: Header=BB2_69 Depth=3
	s_andn2_saveexec_b64 s[40:41], s[40:41]
	s_cbranch_execz .LBB2_84
; %bb.83:                               ;   in Loop: Header=BB2_69 Depth=3
	v_mov_b32_e32 v23, s44
	ds_read_b64 v[24:25], v23 offset:16
	s_waitcnt lgkmcnt(0)
	v_add_f64 v[12:13], v[12:13], v[24:25]
.LBB2_84:                               ;   in Loop: Header=BB2_69 Depth=3
	s_or_b64 exec, exec, s[40:41]
	v_cmp_ne_u32_e32 vcc, s43, v20
	s_or_b64 s[40:41], s[4:5], vcc
	s_and_saveexec_b64 s[46:47], s[40:41]
	s_xor_b64 s[40:41], exec, s[46:47]
	s_cbranch_execz .LBB2_87
; %bb.85:                               ;   in Loop: Header=BB2_69 Depth=3
	s_add_i32 s45, s45, 3
	s_cmp_ge_i32 s45, s15
	s_cbranch_scc1 .LBB2_87
; %bb.86:                               ;   in Loop: Header=BB2_69 Depth=3
	global_load_dwordx2 v[24:25], v[14:15], off offset:24
	v_mov_b32_e32 v23, s44
	ds_read_b64 v[26:27], v23 offset:24
	s_waitcnt vmcnt(0) lgkmcnt(0)
	v_fmac_f64_e32 v[12:13], v[24:25], v[26:27]
.LBB2_87:                               ;   in Loop: Header=BB2_69 Depth=3
	s_andn2_saveexec_b64 s[40:41], s[40:41]
	s_cbranch_execz .LBB2_68
; %bb.88:                               ;   in Loop: Header=BB2_69 Depth=3
	v_mov_b32_e32 v23, s44
	ds_read_b64 v[24:25], v23 offset:24
	s_waitcnt lgkmcnt(0)
	v_add_f64 v[12:13], v[12:13], v[24:25]
	s_branch .LBB2_68
.LBB2_89:                               ;   in Loop: Header=BB2_48 Depth=1
	s_or_b64 exec, exec, s[34:35]
.LBB2_90:                               ;   in Loop: Header=BB2_48 Depth=1
	s_and_saveexec_b64 s[34:35], s[0:1]
	s_cbranch_execz .LBB2_47
; %bb.91:                               ;   in Loop: Header=BB2_48 Depth=1
	ds_read_b64 v[10:11], v16
	v_mad_u64_u32 v[12:13], s[0:1], s6, v17, 0
	v_mov_b32_e32 v2, v13
	v_mad_u64_u32 v[14:15], s[0:1], s7, v17, v[2:3]
	v_mov_b32_e32 v13, v14
	v_lshl_add_u64 v[12:13], v[12:13], 3, s[12:13]
	s_waitcnt lgkmcnt(0)
	global_store_dwordx2 v[12:13], v[10:11], off
	s_branch .LBB2_47
.LBB2_92:
	s_mov_b64 s[0:1], 0
.LBB2_93:
	s_andn2_b64 vcc, exec, s[0:1]
	s_cbranch_vccnz .LBB2_180
; %bb.94:
	s_mov_b64 s[0:1], -1
	s_and_b64 vcc, exec, s[22:23]
	s_cbranch_vccz .LBB2_134
; %bb.95:
	s_andn2_b64 vcc, exec, s[16:17]
	s_cbranch_vccnz .LBB2_133
; %bb.96:
	s_lshl_b32 s22, s15, 1
	s_or_b32 s14, s22, 1
	s_add_u32 s0, s20, s24
	s_addc_u32 s1, s21, s25
	s_add_u32 s18, s18, s0
	s_addc_u32 s19, s19, s1
	s_ashr_i32 s23, s22, 31
	s_lshl_b64 s[0:1], s[22:23], 9
	s_add_u32 s42, s0, 0xfffbfe00
	s_addc_u32 s43, s1, -1
	s_lshl_b64 s[2:3], s[22:23], 1
	s_add_u32 s20, s2, -6
	s_addc_u32 s21, s3, -1
	s_add_u32 s38, s0, 0xfffc0200
	s_addc_u32 s39, s1, -1
	v_mov_b32_e32 v1, 0
	s_add_u32 s24, s2, -2
	v_lshlrev_b32_e32 v2, 3, v0
	v_mov_b32_e32 v3, v1
	s_addc_u32 s25, s3, -1
	v_lshl_add_u64 v[4:5], s[18:19], 0, v[2:3]
	s_add_u32 s26, s18, -8
	v_lshl_add_u64 v[6:7], v[4:5], 0, -8
	s_addc_u32 s27, s19, -1
	v_or_b32_e32 v8, 0x200, v0
	s_mov_b64 s[28:29], 0
	s_mov_b64 s[30:31], 0x200
	;; [unrolled: 1-line block ×6, first 2 shown]
	s_branch .LBB2_98
.LBB2_97:                               ;   in Loop: Header=BB2_98 Depth=1
	s_or_b64 exec, exec, s[44:45]
	s_add_u32 s0, s42, 0xfff80000
	s_addc_u32 s1, s43, -1
	s_add_u32 s22, s22, s42
	s_addc_u32 s23, s23, s43
	s_add_u32 s20, s20, 0xfffff800
	s_addc_u32 s21, s21, -1
	s_add_u32 s42, s38, 0xfff80000
	s_addc_u32 s43, s39, -1
	s_add_u32 s28, s28, s38
	s_addc_u32 s29, s29, s39
	s_add_u32 s24, s24, 0xfffff800
	s_addc_u32 s25, s25, -1
	s_add_u32 s40, s40, 0xfffffe00
	s_addc_u32 s41, s41, -1
	v_add_u32_e32 v8, 0x200, v8
	s_and_b64 vcc, exec, s[4:5]
	s_mov_b64 s[38:39], s[42:43]
	s_mov_b64 s[44:45], s[2:3]
	;; [unrolled: 1-line block ×3, first 2 shown]
	s_barrier
	s_cbranch_vccnz .LBB2_133
.LBB2_98:                               ; =>This Loop Header: Depth=1
                                        ;     Child Loop BB2_102 Depth 2
                                        ;     Child Loop BB2_116 Depth 2
                                        ;       Child Loop BB2_118 Depth 3
	v_add_u32_e32 v3, s44, v0
	v_cmp_le_i32_e64 s[2:3], s15, v3
	v_cmp_gt_i32_e64 s[0:1], s15, v3
	s_and_saveexec_b64 s[4:5], s[0:1]
	s_cbranch_execz .LBB2_100
; %bb.99:                               ;   in Loop: Header=BB2_98 Depth=1
	v_mad_u64_u32 v[10:11], s[46:47], s6, v3, 0
	v_mov_b32_e32 v12, v11
	v_mad_u64_u32 v[12:13], s[46:47], s7, v3, v[12:13]
	v_mov_b32_e32 v11, v12
	v_lshl_add_u64 v[10:11], v[10:11], 3, s[12:13]
	global_load_dwordx2 v[10:11], v[10:11], off
	s_waitcnt vmcnt(0)
	ds_write_b64 v2, v[10:11]
.LBB2_100:                              ;   in Loop: Header=BB2_98 Depth=1
	s_or_b64 exec, exec, s[4:5]
	v_or_b32_e32 v9, s44, v0
	v_sub_u32_e32 v10, s14, v9
	v_ashrrev_i32_e32 v13, 31, v10
	v_mad_u64_u32 v[10:11], s[46:47], v10, v9, 0
	v_mov_b32_e32 v12, v11
	v_mad_u64_u32 v[12:13], s[46:47], v13, v9, v[12:13]
	v_mov_b32_e32 v11, v12
	v_lshlrev_b64 v[10:11], 2, v[10:11]
	v_and_b32_e32 v10, -8, v10
	v_cmp_le_i32_e64 s[4:5], s15, v9
	v_lshl_add_u64 v[10:11], s[10:11], 0, v[10:11]
	s_mov_b32 s33, 0
	s_mov_b64 s[54:55], 0
	s_mov_b64 s[46:47], s[28:29]
	;; [unrolled: 1-line block ×3, first 2 shown]
	v_mov_b64_e32 v[12:13], v[4:5]
	s_mov_b64 s[48:49], s[22:23]
	s_mov_b64 s[52:53], s[20:21]
	v_mov_b64_e32 v[14:15], v[6:7]
	s_waitcnt lgkmcnt(0)
	s_barrier
	s_branch .LBB2_102
.LBB2_101:                              ;   in Loop: Header=BB2_102 Depth=2
	s_or_b64 exec, exec, s[56:57]
	s_add_i32 s33, s33, 16
	s_add_u32 s56, s52, -8
	s_addc_u32 s57, s53, -1
	s_add_u32 s48, s48, s52
	s_addc_u32 s49, s49, s53
	s_add_u32 s52, s50, -8
	s_addc_u32 s53, s51, -1
	s_add_u32 s46, s46, s50
	s_addc_u32 s47, s47, s51
	s_add_u32 s54, s58, 1
	s_addc_u32 s55, s55, 0
	v_lshl_add_u64 v[14:15], v[14:15], 0, -16
	v_lshl_add_u64 v[12:13], v[12:13], 0, -16
	s_cmpk_eq_i32 s54, 0x200
	s_mov_b64 s[50:51], s[52:53]
	s_mov_b64 s[52:53], s[56:57]
	s_cbranch_scc1 .LBB2_112
.LBB2_102:                              ;   Parent Loop BB2_98 Depth=1
                                        ; =>  This Inner Loop Header: Depth=2
	v_cmp_ne_u32_e32 vcc, s54, v0
	s_or_b64 s[56:57], s[8:9], vcc
	s_nor_b64 s[58:59], s[56:57], s[4:5]
	s_and_saveexec_b64 s[56:57], s[58:59]
	s_cbranch_execz .LBB2_104
; %bb.103:                              ;   in Loop: Header=BB2_102 Depth=2
	global_load_dwordx2 v[16:17], v[10:11], off
	ds_read_b64 v[18:19], v2
	s_waitcnt vmcnt(0) lgkmcnt(0)
	v_div_scale_f64 v[20:21], s[58:59], v[16:17], v[16:17], v[18:19]
	v_rcp_f64_e32 v[22:23], v[20:21]
	v_div_scale_f64 v[24:25], vcc, v[18:19], v[16:17], v[18:19]
	v_fma_f64 v[26:27], -v[20:21], v[22:23], 1.0
	v_fmac_f64_e32 v[22:23], v[22:23], v[26:27]
	v_fma_f64 v[26:27], -v[20:21], v[22:23], 1.0
	v_fmac_f64_e32 v[22:23], v[22:23], v[26:27]
	v_mul_f64 v[26:27], v[24:25], v[22:23]
	v_fma_f64 v[20:21], -v[20:21], v[26:27], v[24:25]
	v_div_fmas_f64 v[20:21], v[20:21], v[22:23], v[26:27]
	v_div_fixup_f64 v[16:17], v[20:21], v[16:17], v[18:19]
	ds_write_b64 v2, v[16:17]
.LBB2_104:                              ;   in Loop: Header=BB2_102 Depth=2
	s_or_b64 exec, exec, s[56:57]
	v_cmp_lt_u32_e32 vcc, s54, v0
	s_waitcnt lgkmcnt(0)
	s_barrier
	s_and_saveexec_b64 s[56:57], vcc
	s_cbranch_execz .LBB2_107
; %bb.105:                              ;   in Loop: Header=BB2_102 Depth=2
	s_add_i32 s58, s44, s54
	s_cmp_lt_i32 s58, s15
	s_cselect_b64 s[58:59], -1, 0
	s_xor_b64 s[60:61], s[2:3], -1
	s_and_b64 s[58:59], s[60:61], s[58:59]
	s_and_b64 exec, exec, s[58:59]
	s_cbranch_execz .LBB2_107
; %bb.106:                              ;   in Loop: Header=BB2_102 Depth=2
	s_lshl_b64 s[58:59], s[46:47], 2
	s_and_b32 s58, s58, -8
	v_lshl_add_u64 v[16:17], v[12:13], 0, s[58:59]
	global_load_dwordx2 v[16:17], v[16:17], off
	v_mov_b32_e32 v9, s33
	ds_read_b64 v[18:19], v9
	ds_read_b64 v[20:21], v2
	s_waitcnt vmcnt(0) lgkmcnt(0)
	v_fma_f64 v[16:17], -v[16:17], v[18:19], v[20:21]
	ds_write_b64 v2, v[16:17]
.LBB2_107:                              ;   in Loop: Header=BB2_102 Depth=2
	s_or_b64 exec, exec, s[56:57]
	s_add_u32 s58, s54, 1
	v_cmp_ne_u32_e32 vcc, s58, v0
	s_addc_u32 s55, s55, 0
	s_or_b64 s[56:57], s[8:9], vcc
	s_nor_b64 s[60:61], s[56:57], s[4:5]
	s_and_saveexec_b64 s[56:57], s[60:61]
	s_cbranch_execz .LBB2_109
; %bb.108:                              ;   in Loop: Header=BB2_102 Depth=2
	global_load_dwordx2 v[16:17], v[10:11], off
	ds_read_b64 v[18:19], v2
	s_waitcnt vmcnt(0) lgkmcnt(0)
	v_div_scale_f64 v[20:21], s[60:61], v[16:17], v[16:17], v[18:19]
	v_rcp_f64_e32 v[22:23], v[20:21]
	v_div_scale_f64 v[24:25], vcc, v[18:19], v[16:17], v[18:19]
	v_fma_f64 v[26:27], -v[20:21], v[22:23], 1.0
	v_fmac_f64_e32 v[22:23], v[22:23], v[26:27]
	v_fma_f64 v[26:27], -v[20:21], v[22:23], 1.0
	v_fmac_f64_e32 v[22:23], v[22:23], v[26:27]
	v_mul_f64 v[26:27], v[24:25], v[22:23]
	v_fma_f64 v[20:21], -v[20:21], v[26:27], v[24:25]
	v_div_fmas_f64 v[20:21], v[20:21], v[22:23], v[26:27]
	v_div_fixup_f64 v[16:17], v[20:21], v[16:17], v[18:19]
	ds_write_b64 v2, v[16:17]
.LBB2_109:                              ;   in Loop: Header=BB2_102 Depth=2
	s_or_b64 exec, exec, s[56:57]
	v_cmp_lt_u32_e32 vcc, s58, v0
	s_waitcnt lgkmcnt(0)
	s_barrier
	s_and_saveexec_b64 s[56:57], vcc
	s_cbranch_execz .LBB2_101
; %bb.110:                              ;   in Loop: Header=BB2_102 Depth=2
	s_add_i32 s54, s44, s54
	s_add_i32 s54, s54, 1
	s_cmp_lt_i32 s54, s15
	s_cselect_b64 s[60:61], -1, 0
	s_xor_b64 s[62:63], s[2:3], -1
	s_and_b64 s[60:61], s[62:63], s[60:61]
	s_and_b64 exec, exec, s[60:61]
	s_cbranch_execz .LBB2_101
; %bb.111:                              ;   in Loop: Header=BB2_102 Depth=2
	s_lshl_b64 s[60:61], s[48:49], 2
	s_and_b32 s60, s60, -8
	v_lshl_add_u64 v[16:17], v[14:15], 0, s[60:61]
	global_load_dwordx2 v[16:17], v[16:17], off
	v_mov_b32_e32 v9, s33
	ds_read_b64 v[18:19], v9 offset:8
	ds_read_b64 v[20:21], v2
	s_waitcnt vmcnt(0) lgkmcnt(0)
	v_fma_f64 v[16:17], -v[16:17], v[18:19], v[20:21]
	ds_write_b64 v2, v[16:17]
	s_branch .LBB2_101
.LBB2_112:                              ;   in Loop: Header=BB2_98 Depth=1
	s_add_u32 s2, s44, 0x200
	s_addc_u32 s3, s45, 0
	s_cmp_ge_i32 s2, s15
	s_cselect_b64 s[4:5], -1, 0
	s_and_b64 vcc, exec, s[4:5]
	s_waitcnt lgkmcnt(0)
	s_barrier
	s_cbranch_vccnz .LBB2_131
; %bb.113:                              ;   in Loop: Header=BB2_98 Depth=1
	v_ashrrev_i32_e32 v9, 31, v8
	v_lshl_add_u64 v[10:11], s[40:41], 0, v[8:9]
	v_lshlrev_b64 v[12:13], 3, v[10:11]
	s_mov_b32 s33, s2
	v_lshl_add_u64 v[10:11], s[26:27], 0, v[12:13]
	v_lshl_add_u64 v[12:13], s[18:19], 0, v[12:13]
	s_mov_b64 s[46:47], 0
	v_mov_b64_e32 v[14:15], v[0:1]
                                        ; implicit-def: $sgpr48_sgpr49
	s_branch .LBB2_116
.LBB2_114:                              ;   in Loop: Header=BB2_116 Depth=2
	v_mad_u64_u32 v[18:19], s[52:53], s6, v9, 0
	v_mov_b32_e32 v20, v19
	v_mad_u64_u32 v[20:21], s[52:53], s7, v9, v[20:21]
	v_mov_b32_e32 v19, v20
	v_lshl_add_u64 v[18:19], v[18:19], 3, s[12:13]
	global_load_dwordx2 v[20:21], v[18:19], off
	s_addk_i32 s33, 0x200
	s_cmp_ge_i32 s33, s15
	s_cselect_b64 s[52:53], -1, 0
	s_andn2_b64 s[48:49], s[48:49], exec
	s_and_b64 s[52:53], s[52:53], exec
	v_lshl_add_u64 v[10:11], v[10:11], 0, s[36:37]
	v_lshl_add_u64 v[12:13], v[12:13], 0, s[36:37]
	s_or_b64 s[48:49], s[48:49], s[52:53]
	s_waitcnt vmcnt(0)
	v_add_f64 v[16:17], v[20:21], -v[16:17]
	global_store_dwordx2 v[18:19], v[16:17], off
.LBB2_115:                              ;   in Loop: Header=BB2_116 Depth=2
	s_or_b64 exec, exec, s[50:51]
	s_and_b64 s[50:51], exec, s[48:49]
	s_or_b64 s[46:47], s[50:51], s[46:47]
	s_andn2_b64 exec, exec, s[46:47]
	s_cbranch_execz .LBB2_130
.LBB2_116:                              ;   Parent Loop BB2_98 Depth=1
                                        ; =>  This Loop Header: Depth=2
                                        ;       Child Loop BB2_118 Depth 3
	v_add_u32_e32 v9, s33, v0
	v_cmp_gt_i32_e32 vcc, s15, v9
	s_or_b64 s[48:49], s[48:49], exec
	s_and_saveexec_b64 s[50:51], vcc
	s_cbranch_execz .LBB2_115
; %bb.117:                              ;   in Loop: Header=BB2_116 Depth=2
	v_lshl_add_u64 v[18:19], v[14:15], 0, s[34:35]
	v_lshl_add_u64 v[14:15], v[14:15], 0, s[30:31]
	v_mov_b64_e32 v[16:17], 0
	s_mov_b64 s[52:53], 0
	s_mov_b32 s45, 0
	s_mov_b64 s[54:55], s[28:29]
	s_mov_b64 s[58:59], s[24:25]
	v_mov_b64_e32 v[20:21], v[12:13]
	s_mov_b64 s[56:57], s[22:23]
	s_mov_b64 s[60:61], s[20:21]
	v_mov_b64_e32 v[22:23], v[10:11]
.LBB2_118:                              ;   Parent Loop BB2_98 Depth=1
                                        ;     Parent Loop BB2_116 Depth=2
                                        ; =>    This Inner Loop Header: Depth=3
	v_cmp_ne_u32_e32 vcc, s52, v14
	s_xor_b64 s[62:63], s[8:9], -1
	s_add_u32 s66, s44, s52
	s_or_b64 s[64:65], s[62:63], vcc
	s_and_saveexec_b64 s[68:69], s[64:65]
	s_xor_b64 s[64:65], exec, s[68:69]
	s_cbranch_execz .LBB2_121
; %bb.119:                              ;   in Loop: Header=BB2_118 Depth=3
	s_cmp_ge_i32 s66, s15
	s_cbranch_scc1 .LBB2_121
; %bb.120:                              ;   in Loop: Header=BB2_118 Depth=3
	s_lshl_b64 s[68:69], s[54:55], 2
	s_and_b32 s68, s68, -8
	v_lshl_add_u64 v[24:25], v[20:21], 0, s[68:69]
	global_load_dwordx2 v[24:25], v[24:25], off
	v_mov_b32_e32 v19, s45
	ds_read_b64 v[26:27], v19
	s_waitcnt vmcnt(0) lgkmcnt(0)
	v_fmac_f64_e32 v[16:17], v[24:25], v[26:27]
.LBB2_121:                              ;   in Loop: Header=BB2_118 Depth=3
	s_andn2_saveexec_b64 s[64:65], s[64:65]
	s_cbranch_execz .LBB2_123
; %bb.122:                              ;   in Loop: Header=BB2_118 Depth=3
	v_mov_b32_e32 v19, s45
	ds_read_b64 v[24:25], v19
	s_waitcnt lgkmcnt(0)
	v_add_f64 v[16:17], v[16:17], v[24:25]
.LBB2_123:                              ;   in Loop: Header=BB2_118 Depth=3
	s_or_b64 exec, exec, s[64:65]
	v_cmp_ne_u32_e32 vcc, s52, v18
	s_or_b64 s[62:63], s[62:63], vcc
	s_and_saveexec_b64 s[64:65], s[62:63]
	s_xor_b64 s[62:63], exec, s[64:65]
	s_cbranch_execz .LBB2_126
; %bb.124:                              ;   in Loop: Header=BB2_118 Depth=3
	s_add_i32 s66, s66, 1
	s_cmp_ge_i32 s66, s15
	s_cbranch_scc1 .LBB2_126
; %bb.125:                              ;   in Loop: Header=BB2_118 Depth=3
	s_lshl_b64 s[64:65], s[56:57], 2
	s_and_b32 s64, s64, -8
	v_lshl_add_u64 v[24:25], v[22:23], 0, s[64:65]
	global_load_dwordx2 v[24:25], v[24:25], off
	v_mov_b32_e32 v19, s45
	ds_read_b64 v[26:27], v19 offset:8
	s_waitcnt vmcnt(0) lgkmcnt(0)
	v_fmac_f64_e32 v[16:17], v[24:25], v[26:27]
.LBB2_126:                              ;   in Loop: Header=BB2_118 Depth=3
	s_andn2_saveexec_b64 s[62:63], s[62:63]
	s_cbranch_execz .LBB2_128
; %bb.127:                              ;   in Loop: Header=BB2_118 Depth=3
	v_mov_b32_e32 v19, s45
	ds_read_b64 v[24:25], v19 offset:8
	s_waitcnt lgkmcnt(0)
	v_add_f64 v[16:17], v[16:17], v[24:25]
.LBB2_128:                              ;   in Loop: Header=BB2_118 Depth=3
	s_or_b64 exec, exec, s[62:63]
	s_add_u32 s52, s52, 2
	s_addc_u32 s53, s53, 0
	s_add_i32 s45, s45, 16
	s_add_u32 s62, s60, -8
	s_addc_u32 s63, s61, -1
	s_add_u32 s56, s56, s60
	s_addc_u32 s57, s57, s61
	s_add_u32 s60, s58, -8
	s_addc_u32 s61, s59, -1
	s_add_u32 s54, s54, s58
	s_addc_u32 s55, s55, s59
	v_lshl_add_u64 v[22:23], v[22:23], 0, -16
	s_cmpk_eq_i32 s52, 0x200
	v_lshl_add_u64 v[20:21], v[20:21], 0, -16
	s_cbranch_scc1 .LBB2_114
; %bb.129:                              ;   in Loop: Header=BB2_118 Depth=3
	s_mov_b64 s[58:59], s[60:61]
	s_mov_b64 s[60:61], s[62:63]
	s_branch .LBB2_118
.LBB2_130:                              ;   in Loop: Header=BB2_98 Depth=1
	s_or_b64 exec, exec, s[46:47]
.LBB2_131:                              ;   in Loop: Header=BB2_98 Depth=1
	s_and_saveexec_b64 s[44:45], s[0:1]
	s_cbranch_execz .LBB2_97
; %bb.132:                              ;   in Loop: Header=BB2_98 Depth=1
	ds_read_b64 v[10:11], v2
	v_mad_u64_u32 v[12:13], s[0:1], s6, v3, 0
	v_mov_b32_e32 v14, v13
	v_mad_u64_u32 v[14:15], s[0:1], s7, v3, v[14:15]
	v_mov_b32_e32 v13, v14
	v_lshl_add_u64 v[12:13], v[12:13], 3, s[12:13]
	s_waitcnt lgkmcnt(0)
	global_store_dwordx2 v[12:13], v[10:11], off
	s_branch .LBB2_97
.LBB2_133:
	s_mov_b64 s[0:1], 0
.LBB2_134:
	s_andn2_b64 vcc, exec, s[0:1]
	s_cbranch_vccnz .LBB2_180
; %bb.135:
	s_andn2_b64 vcc, exec, s[16:17]
	s_cbranch_vccnz .LBB2_180
; %bb.136:
	v_mov_b32_e32 v1, 0x2000
	v_mov_b32_e32 v3, 0
	s_movk_i32 s26, 0xfe00
	s_add_i32 s45, s15, 0xfffffe00
	v_lshl_or_b32 v32, v0, 3, v1
	v_add_u32_e32 v33, 0xfffffe01, v0
	s_mov_b32 s33, 0
	s_mov_b32 s44, s15
	v_mov_b32_e32 v1, v3
	s_mov_b64 s[4:5], 0xfffffdfd
	s_mov_b64 s[14:15], 0xfffffdfe
	;; [unrolled: 1-line block ×4, first 2 shown]
	s_xor_b64 s[20:21], s[8:9], -1
	s_mov_b64 s[22:23], 0xfffffe02
	s_mov_b64 s[24:25], 0xfffffe03
	s_mov_b32 s27, -1
	s_branch .LBB2_138
.LBB2_137:                              ;   in Loop: Header=BB2_138 Depth=1
	s_or_b64 exec, exec, s[28:29]
	s_add_u32 s44, s44, 0xfffffe00
	s_addc_u32 s33, s33, -1
	s_and_b64 vcc, exec, s[2:3]
	s_mov_b32 s45, s46
	s_barrier
	s_cbranch_vccnz .LBB2_180
.LBB2_138:                              ; =>This Loop Header: Depth=1
                                        ;     Child Loop BB2_143 Depth 2
                                        ;     Child Loop BB2_158 Depth 2
                                        ;       Child Loop BB2_161 Depth 3
	v_add_u32_e32 v4, s45, v0
	v_cmp_gt_i32_e32 vcc, 0, v4
	v_cmp_lt_i32_e64 s[0:1], -1, v4
	v_mov_b32_e32 v5, v3
	s_and_saveexec_b64 s[2:3], s[0:1]
	s_cbranch_execz .LBB2_140
; %bb.139:                              ;   in Loop: Header=BB2_138 Depth=1
	v_mad_u64_u32 v[6:7], s[28:29], s6, v4, 0
	v_mov_b32_e32 v2, v7
	v_mad_u64_u32 v[8:9], s[28:29], s7, v4, v[2:3]
	v_mov_b32_e32 v7, v8
	v_lshl_add_u64 v[6:7], v[6:7], 3, s[12:13]
	global_load_dwordx2 v[6:7], v[6:7], off
	s_waitcnt vmcnt(0)
	ds_write_b64 v32, v[6:7]
.LBB2_140:                              ;   in Loop: Header=BB2_138 Depth=1
	s_or_b64 exec, exec, s[2:3]
	v_add_u32_e32 v2, 1, v4
	v_mad_u64_u32 v[8:9], s[2:3], v4, v2, 0
	v_lshlrev_b64 v[8:9], 2, v[8:9]
	v_ashrrev_i32_e32 v7, 31, v4
	v_mov_b32_e32 v6, v4
	v_lshl_add_u64 v[10:11], v[4:5], 3, s[10:11]
	v_and_b32_e32 v8, -8, v8
	s_or_b64 s[2:3], s[8:9], vcc
	v_lshl_add_u64 v[6:7], v[6:7], 3, s[10:11]
	v_lshl_add_u64 v[8:9], v[10:11], 0, v[8:9]
	s_movk_i32 s34, 0x1ff
	s_movk_i32 s35, 0x2ff0
	v_mov_b32_e32 v5, s44
	s_xor_b64 s[28:29], s[2:3], -1
	v_mov_b32_e32 v2, v33
	s_waitcnt lgkmcnt(0)
	s_barrier
	s_branch .LBB2_143
.LBB2_141:                              ;   in Loop: Header=BB2_143 Depth=2
	s_or_b64 exec, exec, s[30:31]
	v_mov_b32_e32 v5, v11
.LBB2_142:                              ;   in Loop: Header=BB2_143 Depth=2
	s_or_b64 exec, exec, s[2:3]
	s_add_i32 s34, s34, -2
	s_add_i32 s35, s35, -16
	s_cmp_eq_u32 s36, 0
	v_add_u32_e32 v2, 2, v2
	s_cbranch_scc1 .LBB2_154
.LBB2_143:                              ;   Parent Loop BB2_138 Depth=1
                                        ; =>  This Inner Loop Header: Depth=2
	v_cmp_eq_u32_e32 vcc, 0, v2
	s_and_b64 s[30:31], vcc, s[28:29]
	s_and_saveexec_b64 s[2:3], s[30:31]
	s_cbranch_execz .LBB2_145
; %bb.144:                              ;   in Loop: Header=BB2_143 Depth=2
	global_load_dwordx2 v[10:11], v[8:9], off
	ds_read_b64 v[12:13], v32
	s_waitcnt vmcnt(0) lgkmcnt(0)
	v_div_scale_f64 v[14:15], s[30:31], v[10:11], v[10:11], v[12:13]
	v_rcp_f64_e32 v[16:17], v[14:15]
	v_div_scale_f64 v[18:19], vcc, v[12:13], v[10:11], v[12:13]
	v_fma_f64 v[20:21], -v[14:15], v[16:17], 1.0
	v_fmac_f64_e32 v[16:17], v[16:17], v[20:21]
	v_fma_f64 v[20:21], -v[14:15], v[16:17], 1.0
	v_fmac_f64_e32 v[16:17], v[16:17], v[20:21]
	v_mul_f64 v[20:21], v[18:19], v[16:17]
	v_fma_f64 v[14:15], -v[14:15], v[20:21], v[18:19]
	v_div_fmas_f64 v[14:15], v[14:15], v[16:17], v[20:21]
	v_div_fixup_f64 v[10:11], v[14:15], v[10:11], v[12:13]
	ds_write_b64 v32, v[10:11]
.LBB2_145:                              ;   in Loop: Header=BB2_143 Depth=2
	s_or_b64 exec, exec, s[2:3]
	v_add_u32_e32 v10, -1, v5
	v_or_b32_e32 v11, v4, v10
	v_cmp_gt_u32_e32 vcc, s34, v0
	v_cmp_lt_i32_e64 s[2:3], -1, v11
	s_and_b64 s[30:31], vcc, s[2:3]
	s_waitcnt lgkmcnt(0)
	s_barrier
	s_and_saveexec_b64 s[2:3], s[30:31]
	s_cbranch_execz .LBB2_147
; %bb.146:                              ;   in Loop: Header=BB2_143 Depth=2
	v_mad_u64_u32 v[12:13], s[30:31], v5, v10, 0
	v_lshlrev_b64 v[12:13], 2, v[12:13]
	v_and_b32_e32 v12, -8, v12
	v_lshl_add_u64 v[12:13], v[6:7], 0, v[12:13]
	global_load_dwordx2 v[12:13], v[12:13], off
	v_mov_b32_e32 v11, s35
	ds_read_b64 v[14:15], v11 offset:8
	ds_read_b64 v[16:17], v32
	s_waitcnt vmcnt(0) lgkmcnt(0)
	v_fma_f64 v[12:13], -v[12:13], v[14:15], v[16:17]
	ds_write_b64 v32, v[12:13]
.LBB2_147:                              ;   in Loop: Header=BB2_143 Depth=2
	s_or_b64 exec, exec, s[2:3]
	s_add_i32 s36, s34, -1
	v_cmp_eq_u32_e32 vcc, s36, v0
	s_and_b64 s[30:31], vcc, s[28:29]
	s_and_saveexec_b64 s[2:3], s[30:31]
	s_cbranch_execz .LBB2_149
; %bb.148:                              ;   in Loop: Header=BB2_143 Depth=2
	global_load_dwordx2 v[12:13], v[8:9], off
	ds_read_b64 v[14:15], v32
	s_waitcnt vmcnt(0) lgkmcnt(0)
	v_div_scale_f64 v[16:17], s[30:31], v[12:13], v[12:13], v[14:15]
	v_rcp_f64_e32 v[18:19], v[16:17]
	v_div_scale_f64 v[20:21], vcc, v[14:15], v[12:13], v[14:15]
	v_fma_f64 v[22:23], -v[16:17], v[18:19], 1.0
	v_fmac_f64_e32 v[18:19], v[18:19], v[22:23]
	v_fma_f64 v[22:23], -v[16:17], v[18:19], 1.0
	v_fmac_f64_e32 v[18:19], v[18:19], v[22:23]
	v_mul_f64 v[22:23], v[20:21], v[18:19]
	v_fma_f64 v[16:17], -v[16:17], v[22:23], v[20:21]
	v_div_fmas_f64 v[16:17], v[16:17], v[18:19], v[22:23]
	v_div_fixup_f64 v[12:13], v[16:17], v[12:13], v[14:15]
	ds_write_b64 v32, v[12:13]
.LBB2_149:                              ;   in Loop: Header=BB2_143 Depth=2
	s_or_b64 exec, exec, s[2:3]
	v_cmp_le_u32_e32 vcc, s36, v0
	v_add_u32_e32 v11, -2, v5
	s_waitcnt lgkmcnt(0)
	s_barrier
	s_and_saveexec_b64 s[2:3], vcc
	s_xor_b64 s[2:3], exec, s[2:3]
; %bb.150:                              ;   in Loop: Header=BB2_143 Depth=2
	v_add_u32_e32 v5, -2, v5
                                        ; implicit-def: $vgpr11
                                        ; implicit-def: $vgpr10
; %bb.151:                              ;   in Loop: Header=BB2_143 Depth=2
	s_andn2_saveexec_b64 s[2:3], s[2:3]
	s_cbranch_execz .LBB2_142
; %bb.152:                              ;   in Loop: Header=BB2_143 Depth=2
	v_or_b32_e32 v5, v4, v11
	v_cmp_lt_i32_e32 vcc, -1, v5
	s_and_saveexec_b64 s[30:31], vcc
	s_cbranch_execz .LBB2_141
; %bb.153:                              ;   in Loop: Header=BB2_143 Depth=2
	v_mad_u64_u32 v[12:13], s[38:39], v10, v11, 0
	v_lshlrev_b64 v[12:13], 2, v[12:13]
	v_and_b32_e32 v12, -8, v12
	v_lshl_add_u64 v[12:13], v[6:7], 0, v[12:13]
	global_load_dwordx2 v[12:13], v[12:13], off
	v_mov_b32_e32 v5, s35
	ds_read_b64 v[14:15], v5
	ds_read_b64 v[16:17], v32
	s_waitcnt vmcnt(0) lgkmcnt(0)
	v_fma_f64 v[12:13], -v[12:13], v[14:15], v[16:17]
	ds_write_b64 v32, v[12:13]
	s_branch .LBB2_141
.LBB2_154:                              ;   in Loop: Header=BB2_138 Depth=1
	s_add_i32 s46, s45, 0xfffffe00
	s_cmp_lt_i32 s45, 1
	s_cselect_b64 s[2:3], -1, 0
	s_and_b64 vcc, exec, s[2:3]
	s_waitcnt lgkmcnt(0)
	s_barrier
	s_cbranch_vccnz .LBB2_178
; %bb.155:                              ;   in Loop: Header=BB2_138 Depth=1
	s_mov_b64 s[28:29], 0
	v_mov_b64_e32 v[6:7], v[0:1]
	s_mov_b32 s47, s46
                                        ; implicit-def: $sgpr30_sgpr31
	s_branch .LBB2_158
.LBB2_156:                              ;   in Loop: Header=BB2_158 Depth=2
	v_mad_u64_u32 v[10:11], s[36:37], s6, v2, 0
	v_mov_b32_e32 v12, v11
	v_mad_u64_u32 v[12:13], s[36:37], s7, v2, v[12:13]
	v_mov_b32_e32 v11, v12
	v_lshl_add_u64 v[10:11], v[10:11], 3, s[12:13]
	global_load_dwordx2 v[12:13], v[10:11], off
	s_add_i32 s38, s47, 0xfffffe00
	s_cmp_lt_i32 s47, 1
	s_cselect_b64 s[36:37], -1, 0
	s_andn2_b64 s[30:31], s[30:31], exec
	s_and_b64 s[36:37], s[36:37], exec
	v_lshl_add_u64 v[6:7], v[6:7], 0, s[26:27]
	s_or_b64 s[30:31], s[30:31], s[36:37]
	s_mov_b32 s47, s38
	s_waitcnt vmcnt(0)
	v_add_f64 v[8:9], v[12:13], -v[8:9]
	global_store_dwordx2 v[10:11], v[8:9], off
.LBB2_157:                              ;   in Loop: Header=BB2_158 Depth=2
	s_or_b64 exec, exec, s[34:35]
	s_and_b64 s[34:35], exec, s[30:31]
	s_or_b64 s[28:29], s[34:35], s[28:29]
	s_andn2_b64 exec, exec, s[28:29]
	s_cbranch_execz .LBB2_177
.LBB2_158:                              ;   Parent Loop BB2_138 Depth=1
                                        ; =>  This Loop Header: Depth=2
                                        ;       Child Loop BB2_161 Depth 3
	v_add_u32_e32 v2, s47, v0
	v_cmp_lt_i32_e32 vcc, -1, v2
	s_or_b64 s[30:31], s[30:31], exec
	s_and_saveexec_b64 s[34:35], vcc
	s_cbranch_execz .LBB2_157
; %bb.159:                              ;   in Loop: Header=BB2_158 Depth=2
	v_lshl_add_u64 v[10:11], v[2:3], 3, s[10:11]
	v_lshl_add_u64 v[12:13], v[6:7], 0, s[4:5]
	;; [unrolled: 1-line block ×5, first 2 shown]
	v_mov_b64_e32 v[8:9], 0
	s_movk_i32 s48, 0x2000
	s_mov_b64 s[36:37], 0
	s_branch .LBB2_161
.LBB2_160:                              ;   in Loop: Header=BB2_161 Depth=3
	s_or_b64 exec, exec, s[38:39]
	s_waitcnt lgkmcnt(0)
	v_add_f64 v[8:9], v[8:9], v[20:21]
	s_add_i32 s48, s48, 32
	v_add_f64 v[8:9], v[8:9], v[24:25]
	s_add_u32 s36, s36, 4
	v_add_f64 v[8:9], v[8:9], v[26:27]
	s_addc_u32 s37, s37, 0
	s_cmpk_eq_i32 s36, 0x200
	v_add_f64 v[8:9], v[8:9], v[28:29]
	s_cbranch_scc1 .LBB2_156
.LBB2_161:                              ;   Parent Loop BB2_138 Depth=1
                                        ;     Parent Loop BB2_158 Depth=2
                                        ; =>    This Inner Loop Header: Depth=3
	v_cmp_ne_u32_e32 vcc, s36, v18
	s_or_b64 s[42:43], s[20:21], vcc
                                        ; implicit-def: $vgpr20_vgpr21
                                        ; implicit-def: $sgpr38_sgpr39
                                        ; implicit-def: $sgpr40_sgpr41
	s_and_saveexec_b64 s[50:51], s[42:43]
	s_xor_b64 s[42:43], exec, s[50:51]
	s_cbranch_execz .LBB2_163
; %bb.162:                              ;   in Loop: Header=BB2_161 Depth=3
	s_add_u32 s38, s44, s36
	s_addc_u32 s39, s33, s37
	s_add_u32 s40, s38, 0xfffffe01
	s_addc_u32 s41, s39, 0
	;; [unrolled: 2-line block ×3, first 2 shown]
	s_mul_i32 s50, s40, s50
	s_mul_hi_u32 s51, s40, s49
	s_add_i32 s51, s51, s50
	s_mul_i32 s50, s40, s49
	s_lshl_b64 s[50:51], s[50:51], 2
	s_and_b32 s50, s50, -8
	v_lshl_add_u64 v[20:21], v[10:11], 0, s[50:51]
	global_load_dwordx2 v[20:21], v[20:21], off
	v_mov_b32_e32 v5, s48
	ds_read_b64 v[22:23], v5
	s_waitcnt vmcnt(0) lgkmcnt(0)
	v_mul_f64 v[20:21], v[20:21], v[22:23]
.LBB2_163:                              ;   in Loop: Header=BB2_161 Depth=3
	s_or_saveexec_b64 s[42:43], s[42:43]
	v_mov_b64_e32 v[26:27], s[40:41]
	v_mov_b64_e32 v[22:23], s[38:39]
	s_xor_b64 exec, exec, s[42:43]
	s_cbranch_execz .LBB2_165
; %bb.164:                              ;   in Loop: Header=BB2_161 Depth=3
	v_mov_b32_e32 v5, s48
	ds_read_b64 v[20:21], v5
	s_add_u32 s38, s44, s36
	s_addc_u32 s39, s33, s37
	s_add_u32 s40, s38, 0xfffffe01
	s_addc_u32 s41, s39, 0
	v_mov_b64_e32 v[26:27], s[40:41]
	v_mov_b64_e32 v[22:23], s[38:39]
.LBB2_165:                              ;   in Loop: Header=BB2_161 Depth=3
	s_or_b64 exec, exec, s[42:43]
	v_cmp_ne_u32_e32 vcc, s36, v16
	s_or_b64 s[38:39], s[20:21], vcc
	v_lshl_add_u64 v[28:29], v[22:23], 0, s[22:23]
                                        ; implicit-def: $vgpr24_vgpr25
	s_and_saveexec_b64 s[40:41], s[38:39]
	s_xor_b64 s[38:39], exec, s[40:41]
	s_cbranch_execz .LBB2_167
; %bb.166:                              ;   in Loop: Header=BB2_161 Depth=3
	v_lshl_add_u64 v[28:29], v[22:23], 0, s[22:23]
	v_mad_u64_u32 v[24:25], s[40:41], v28, v26, 0
	v_lshlrev_b64 v[24:25], 2, v[24:25]
	v_and_b32_e32 v24, -8, v24
	v_lshl_add_u64 v[24:25], v[10:11], 0, v[24:25]
	global_load_dwordx2 v[24:25], v[24:25], off
	v_mov_b32_e32 v5, s48
	ds_read_b64 v[26:27], v5 offset:8
	s_waitcnt vmcnt(0) lgkmcnt(0)
	v_mul_f64 v[24:25], v[24:25], v[26:27]
.LBB2_167:                              ;   in Loop: Header=BB2_161 Depth=3
	s_andn2_saveexec_b64 s[38:39], s[38:39]
; %bb.168:                              ;   in Loop: Header=BB2_161 Depth=3
	v_mov_b32_e32 v5, s48
	ds_read_b64 v[24:25], v5 offset:8
; %bb.169:                              ;   in Loop: Header=BB2_161 Depth=3
	s_or_b64 exec, exec, s[38:39]
	v_cmp_ne_u32_e32 vcc, s36, v14
	s_or_b64 s[38:39], s[20:21], vcc
	v_lshl_add_u64 v[30:31], v[22:23], 0, s[24:25]
                                        ; implicit-def: $vgpr26_vgpr27
	s_and_saveexec_b64 s[40:41], s[38:39]
	s_xor_b64 s[38:39], exec, s[40:41]
	s_cbranch_execz .LBB2_171
; %bb.170:                              ;   in Loop: Header=BB2_161 Depth=3
	v_lshl_add_u64 v[30:31], v[22:23], 0, s[24:25]
	v_mad_u64_u32 v[26:27], s[40:41], v30, v28, 0
	v_lshlrev_b64 v[26:27], 2, v[26:27]
	v_and_b32_e32 v26, -8, v26
	v_lshl_add_u64 v[26:27], v[10:11], 0, v[26:27]
	global_load_dwordx2 v[26:27], v[26:27], off
	v_mov_b32_e32 v5, s48
	ds_read_b64 v[28:29], v5 offset:16
	s_waitcnt vmcnt(0) lgkmcnt(0)
	v_mul_f64 v[26:27], v[26:27], v[28:29]
.LBB2_171:                              ;   in Loop: Header=BB2_161 Depth=3
	s_andn2_saveexec_b64 s[38:39], s[38:39]
; %bb.172:                              ;   in Loop: Header=BB2_161 Depth=3
	v_mov_b32_e32 v5, s48
	ds_read_b64 v[26:27], v5 offset:16
; %bb.173:                              ;   in Loop: Header=BB2_161 Depth=3
	s_or_b64 exec, exec, s[38:39]
	v_cmp_ne_u32_e32 vcc, s36, v12
	s_or_b64 s[38:39], s[20:21], vcc
                                        ; implicit-def: $vgpr28_vgpr29
	s_and_saveexec_b64 s[40:41], s[38:39]
	s_xor_b64 s[38:39], exec, s[40:41]
	s_cbranch_execz .LBB2_175
; %bb.174:                              ;   in Loop: Header=BB2_161 Depth=3
	v_add_u32_e32 v5, 0xfffffe04, v22
	v_mad_u64_u32 v[22:23], s[40:41], v5, v30, 0
	v_lshlrev_b64 v[22:23], 2, v[22:23]
	v_and_b32_e32 v22, -8, v22
	v_lshl_add_u64 v[22:23], v[10:11], 0, v[22:23]
	global_load_dwordx2 v[22:23], v[22:23], off
	v_mov_b32_e32 v5, s48
	ds_read_b64 v[28:29], v5 offset:24
	s_waitcnt vmcnt(0) lgkmcnt(0)
	v_mul_f64 v[28:29], v[22:23], v[28:29]
.LBB2_175:                              ;   in Loop: Header=BB2_161 Depth=3
	s_andn2_saveexec_b64 s[38:39], s[38:39]
	s_cbranch_execz .LBB2_160
; %bb.176:                              ;   in Loop: Header=BB2_161 Depth=3
	v_mov_b32_e32 v5, s48
	ds_read_b64 v[28:29], v5 offset:24
	s_branch .LBB2_160
.LBB2_177:                              ;   in Loop: Header=BB2_138 Depth=1
	s_or_b64 exec, exec, s[28:29]
.LBB2_178:                              ;   in Loop: Header=BB2_138 Depth=1
	s_and_saveexec_b64 s[28:29], s[0:1]
	s_cbranch_execz .LBB2_137
; %bb.179:                              ;   in Loop: Header=BB2_138 Depth=1
	ds_read_b64 v[6:7], v32
	v_mad_u64_u32 v[8:9], s[0:1], s6, v4, 0
	v_mov_b32_e32 v2, v9
	v_mad_u64_u32 v[4:5], s[0:1], s7, v4, v[2:3]
	v_mov_b32_e32 v9, v4
	v_lshl_add_u64 v[4:5], v[8:9], 3, s[12:13]
	s_waitcnt lgkmcnt(0)
	global_store_dwordx2 v[4:5], v[6:7], off
	s_branch .LBB2_137
.LBB2_180:
	s_endpgm
	.section	.rodata,"a",@progbits
	.p2align	6, 0x0
	.amdhsa_kernel _ZL19rocblas_tpsv_kernelILb1ELi512EPKdPdEv18rocblas_operation_bbiT1_llT2_lll
		.amdhsa_group_segment_fixed_size 16384
		.amdhsa_private_segment_fixed_size 0
		.amdhsa_kernarg_size 72
		.amdhsa_user_sgpr_count 2
		.amdhsa_user_sgpr_dispatch_ptr 0
		.amdhsa_user_sgpr_queue_ptr 0
		.amdhsa_user_sgpr_kernarg_segment_ptr 1
		.amdhsa_user_sgpr_dispatch_id 0
		.amdhsa_user_sgpr_kernarg_preload_length 0
		.amdhsa_user_sgpr_kernarg_preload_offset 0
		.amdhsa_user_sgpr_private_segment_size 0
		.amdhsa_uses_dynamic_stack 0
		.amdhsa_enable_private_segment 0
		.amdhsa_system_sgpr_workgroup_id_x 1
		.amdhsa_system_sgpr_workgroup_id_y 0
		.amdhsa_system_sgpr_workgroup_id_z 0
		.amdhsa_system_sgpr_workgroup_info 0
		.amdhsa_system_vgpr_workitem_id 0
		.amdhsa_next_free_vgpr 34
		.amdhsa_next_free_sgpr 70
		.amdhsa_accum_offset 36
		.amdhsa_reserve_vcc 1
		.amdhsa_float_round_mode_32 0
		.amdhsa_float_round_mode_16_64 0
		.amdhsa_float_denorm_mode_32 3
		.amdhsa_float_denorm_mode_16_64 3
		.amdhsa_dx10_clamp 1
		.amdhsa_ieee_mode 1
		.amdhsa_fp16_overflow 0
		.amdhsa_tg_split 0
		.amdhsa_exception_fp_ieee_invalid_op 0
		.amdhsa_exception_fp_denorm_src 0
		.amdhsa_exception_fp_ieee_div_zero 0
		.amdhsa_exception_fp_ieee_overflow 0
		.amdhsa_exception_fp_ieee_underflow 0
		.amdhsa_exception_fp_ieee_inexact 0
		.amdhsa_exception_int_div_zero 0
	.end_amdhsa_kernel
	.section	.text._ZL19rocblas_tpsv_kernelILb1ELi512EPKdPdEv18rocblas_operation_bbiT1_llT2_lll,"axG",@progbits,_ZL19rocblas_tpsv_kernelILb1ELi512EPKdPdEv18rocblas_operation_bbiT1_llT2_lll,comdat
.Lfunc_end2:
	.size	_ZL19rocblas_tpsv_kernelILb1ELi512EPKdPdEv18rocblas_operation_bbiT1_llT2_lll, .Lfunc_end2-_ZL19rocblas_tpsv_kernelILb1ELi512EPKdPdEv18rocblas_operation_bbiT1_llT2_lll
                                        ; -- End function
	.set _ZL19rocblas_tpsv_kernelILb1ELi512EPKdPdEv18rocblas_operation_bbiT1_llT2_lll.num_vgpr, 34
	.set _ZL19rocblas_tpsv_kernelILb1ELi512EPKdPdEv18rocblas_operation_bbiT1_llT2_lll.num_agpr, 0
	.set _ZL19rocblas_tpsv_kernelILb1ELi512EPKdPdEv18rocblas_operation_bbiT1_llT2_lll.numbered_sgpr, 70
	.set _ZL19rocblas_tpsv_kernelILb1ELi512EPKdPdEv18rocblas_operation_bbiT1_llT2_lll.num_named_barrier, 0
	.set _ZL19rocblas_tpsv_kernelILb1ELi512EPKdPdEv18rocblas_operation_bbiT1_llT2_lll.private_seg_size, 0
	.set _ZL19rocblas_tpsv_kernelILb1ELi512EPKdPdEv18rocblas_operation_bbiT1_llT2_lll.uses_vcc, 1
	.set _ZL19rocblas_tpsv_kernelILb1ELi512EPKdPdEv18rocblas_operation_bbiT1_llT2_lll.uses_flat_scratch, 0
	.set _ZL19rocblas_tpsv_kernelILb1ELi512EPKdPdEv18rocblas_operation_bbiT1_llT2_lll.has_dyn_sized_stack, 0
	.set _ZL19rocblas_tpsv_kernelILb1ELi512EPKdPdEv18rocblas_operation_bbiT1_llT2_lll.has_recursion, 0
	.set _ZL19rocblas_tpsv_kernelILb1ELi512EPKdPdEv18rocblas_operation_bbiT1_llT2_lll.has_indirect_call, 0
	.section	.AMDGPU.csdata,"",@progbits
; Kernel info:
; codeLenInByte = 6972
; TotalNumSgprs: 76
; NumVgprs: 34
; NumAgprs: 0
; TotalNumVgprs: 34
; ScratchSize: 0
; MemoryBound: 0
; FloatMode: 240
; IeeeMode: 1
; LDSByteSize: 16384 bytes/workgroup (compile time only)
; SGPRBlocks: 9
; VGPRBlocks: 4
; NumSGPRsForWavesPerEU: 76
; NumVGPRsForWavesPerEU: 34
; AccumOffset: 36
; Occupancy: 8
; WaveLimiterHint : 0
; COMPUTE_PGM_RSRC2:SCRATCH_EN: 0
; COMPUTE_PGM_RSRC2:USER_SGPR: 2
; COMPUTE_PGM_RSRC2:TRAP_HANDLER: 0
; COMPUTE_PGM_RSRC2:TGID_X_EN: 1
; COMPUTE_PGM_RSRC2:TGID_Y_EN: 0
; COMPUTE_PGM_RSRC2:TGID_Z_EN: 0
; COMPUTE_PGM_RSRC2:TIDIG_COMP_CNT: 0
; COMPUTE_PGM_RSRC3_GFX90A:ACCUM_OFFSET: 8
; COMPUTE_PGM_RSRC3_GFX90A:TG_SPLIT: 0
	.section	.text._ZL19rocblas_tpsv_kernelILb0ELi512EPKdPdEv18rocblas_operation_bbiT1_llT2_lll,"axG",@progbits,_ZL19rocblas_tpsv_kernelILb0ELi512EPKdPdEv18rocblas_operation_bbiT1_llT2_lll,comdat
	.globl	_ZL19rocblas_tpsv_kernelILb0ELi512EPKdPdEv18rocblas_operation_bbiT1_llT2_lll ; -- Begin function _ZL19rocblas_tpsv_kernelILb0ELi512EPKdPdEv18rocblas_operation_bbiT1_llT2_lll
	.p2align	8
	.type	_ZL19rocblas_tpsv_kernelILb0ELi512EPKdPdEv18rocblas_operation_bbiT1_llT2_lll,@function
_ZL19rocblas_tpsv_kernelILb0ELi512EPKdPdEv18rocblas_operation_bbiT1_llT2_lll: ; @_ZL19rocblas_tpsv_kernelILb0ELi512EPKdPdEv18rocblas_operation_bbiT1_llT2_lll
; %bb.0:
	s_load_dwordx2 s[28:29], s[0:1], 0x0
	s_load_dwordx2 s[14:15], s[0:1], 0x4
	;; [unrolled: 1-line block ×3, first 2 shown]
	s_load_dwordx4 s[24:27], s[0:1], 0x18
	s_load_dwordx2 s[12:13], s[0:1], 0x28
	s_waitcnt lgkmcnt(0)
	s_bitcmp1_b32 s29, 0
	s_cselect_b64 s[4:5], -1, 0
	s_xor_b64 s[22:23], s[4:5], -1
	s_bitcmp1_b32 s14, 8
	s_load_dwordx4 s[4:7], s[0:1], 0x30
	s_load_dwordx2 s[16:17], s[0:1], 0x40
	s_mul_i32 s0, s27, s2
	s_mul_hi_u32 s1, s26, s2
	s_cselect_b64 s[8:9], -1, 0
	s_add_i32 s1, s1, s0
	s_mul_i32 s0, s26, s2
	s_lshl_b64 s[20:21], s[0:1], 3
	s_add_u32 s0, s18, s20
	s_addc_u32 s1, s19, s21
	s_lshl_b64 s[24:25], s[24:25], 3
	s_add_u32 s10, s0, s24
	s_addc_u32 s11, s1, s25
	s_waitcnt lgkmcnt(0)
	s_mul_i32 s0, s17, s2
	s_mul_hi_u32 s1, s16, s2
	s_add_i32 s1, s1, s0
	s_mul_i32 s0, s16, s2
	s_lshl_b64 s[0:1], s[0:1], 3
	s_add_u32 s2, s12, s0
	s_addc_u32 s3, s13, s1
	s_lshl_b64 s[0:1], s[4:5], 3
	s_add_u32 s12, s2, s0
	s_addc_u32 s13, s3, s1
	s_cmp_gt_i32 s15, 0
	s_cselect_b64 s[16:17], -1, 0
	s_cmpk_lg_i32 s28, 0x6f
	s_mov_b64 s[0:1], -1
	s_cbranch_scc0 .LBB3_93
; %bb.1:
	s_and_b64 vcc, exec, s[22:23]
	s_cbranch_vccz .LBB3_44
; %bb.2:
	s_andn2_b64 vcc, exec, s[16:17]
	s_cbranch_vccnz .LBB3_43
; %bb.3:
	s_lshl_b32 s2, s15, 1
	s_add_i32 s38, s15, 0xfffffe00
	s_or_b32 s14, s2, 1
	s_add_u32 s3, s20, s24
	s_addc_u32 s4, s21, s25
	s_ashr_i32 s1, s15, 31
	s_mov_b32 s0, s15
	s_lshl_b64 s[0:1], s[0:1], 3
	s_add_u32 s0, s3, s0
	s_addc_u32 s1, s4, s1
	s_add_u32 s0, s18, s0
	s_addc_u32 s1, s19, s1
	v_mov_b32_e32 v1, 0x1000
	s_add_u32 s4, s0, 0xfffff000
	v_add_u32_e32 v2, s15, v0
	v_lshl_or_b32 v1, v0, 3, v1
	v_xor_b32_e32 v20, 0x1ff, v0
	s_addc_u32 s5, s1, -1
	v_add_u32_e32 v21, 0xfffffc00, v2
	s_ashr_i32 s33, s2, 31
	v_mov_b32_e32 v3, 0
	s_movk_i32 s42, 0x400
	s_xor_b64 s[26:27], s[8:9], -1
	s_movk_i32 s43, 0x401
	s_movk_i32 s44, 0x402
	;; [unrolled: 1-line block ×3, first 2 shown]
	s_mov_b64 s[28:29], 0x1000
	s_mov_b64 s[30:31], 0x200
	s_branch .LBB3_5
.LBB3_4:                                ;   in Loop: Header=BB3_5 Depth=1
	s_or_b64 exec, exec, s[34:35]
	s_add_u32 s4, s4, 0xfffff000
	s_addc_u32 s5, s5, -1
	v_add_u32_e32 v21, 0xfffffe00, v21
	s_andn2_b64 vcc, exec, s[2:3]
	s_mov_b32 s38, s46
	s_barrier
	s_cbranch_vccz .LBB3_43
.LBB3_5:                                ; =>This Loop Header: Depth=1
                                        ;     Child Loop BB3_9 Depth 2
                                        ;     Child Loop BB3_21 Depth 2
                                        ;       Child Loop BB3_24 Depth 3
	v_add_u32_e32 v22, s38, v0
	v_cmp_gt_i32_e64 s[2:3], 0, v22
	v_cmp_lt_i32_e64 s[0:1], -1, v22
	s_and_saveexec_b64 s[34:35], s[0:1]
	s_cbranch_execz .LBB3_7
; %bb.6:                                ;   in Loop: Header=BB3_5 Depth=1
	v_mad_u64_u32 v[4:5], s[36:37], s6, v22, 0
	v_mov_b32_e32 v2, v5
	v_mad_u64_u32 v[6:7], s[36:37], s7, v22, v[2:3]
	v_mov_b32_e32 v5, v6
	v_lshl_add_u64 v[4:5], v[4:5], 3, s[12:13]
	global_load_dwordx2 v[4:5], v[4:5], off
	s_waitcnt vmcnt(0)
	ds_write_b64 v1, v[4:5]
.LBB3_7:                                ;   in Loop: Header=BB3_5 Depth=1
	s_or_b64 exec, exec, s[34:35]
	v_sub_u32_e32 v2, s14, v22
	v_mad_u64_u32 v[4:5], s[34:35], v22, v2, 0
	v_ashrrev_i32_e32 v6, 31, v2
	v_mov_b32_e32 v2, v5
	v_mad_u64_u32 v[6:7], s[34:35], v22, v6, v[2:3]
	v_mov_b32_e32 v5, v6
	v_lshlrev_b64 v[4:5], 2, v[4:5]
	v_and_b32_e32 v4, -8, v4
	s_or_b64 s[34:35], s[8:9], s[2:3]
	s_not_b32 s39, s38
	v_lshl_add_u64 v[4:5], s[10:11], 0, v[4:5]
	s_movk_i32 s40, 0x1ff
	s_movk_i32 s41, 0x1ff0
	s_xor_b64 s[34:35], s[34:35], -1
	v_mov_b32_e32 v2, v20
	s_waitcnt lgkmcnt(0)
	s_barrier
	s_branch .LBB3_9
.LBB3_8:                                ;   in Loop: Header=BB3_9 Depth=2
	s_or_b64 exec, exec, s[36:37]
	s_add_i32 s40, s40, -2
	s_add_i32 s41, s41, -16
	s_cmp_eq_u32 s46, 0
	v_add_u32_e32 v2, -2, v2
	s_cbranch_scc1 .LBB3_17
.LBB3_9:                                ;   Parent Loop BB3_5 Depth=1
                                        ; =>  This Inner Loop Header: Depth=2
	v_cmp_eq_u32_e32 vcc, 0, v2
	s_and_b64 s[46:47], vcc, s[34:35]
	s_and_saveexec_b64 s[36:37], s[46:47]
	s_cbranch_execz .LBB3_11
; %bb.10:                               ;   in Loop: Header=BB3_9 Depth=2
	global_load_dwordx2 v[6:7], v[4:5], off
	ds_read_b64 v[8:9], v1
	s_waitcnt vmcnt(0) lgkmcnt(0)
	v_div_scale_f64 v[10:11], s[46:47], v[6:7], v[6:7], v[8:9]
	v_rcp_f64_e32 v[12:13], v[10:11]
	v_div_scale_f64 v[14:15], vcc, v[8:9], v[6:7], v[8:9]
	v_fma_f64 v[16:17], -v[10:11], v[12:13], 1.0
	v_fmac_f64_e32 v[12:13], v[12:13], v[16:17]
	v_fma_f64 v[16:17], -v[10:11], v[12:13], 1.0
	v_fmac_f64_e32 v[12:13], v[12:13], v[16:17]
	v_mul_f64 v[16:17], v[14:15], v[12:13]
	v_fma_f64 v[10:11], -v[10:11], v[16:17], v[14:15]
	v_div_fmas_f64 v[10:11], v[10:11], v[12:13], v[16:17]
	v_div_fixup_f64 v[6:7], v[10:11], v[6:7], v[8:9]
	ds_write_b64 v1, v[6:7]
.LBB3_11:                               ;   in Loop: Header=BB3_9 Depth=2
	s_or_b64 exec, exec, s[36:37]
	s_cmp_le_i32 s40, s39
	v_cmp_le_u32_e32 vcc, s40, v0
	s_cselect_b64 s[36:37], -1, 0
	s_or_b64 s[36:37], vcc, s[36:37]
	s_nor_b64 s[46:47], s[2:3], s[36:37]
	s_waitcnt lgkmcnt(0)
	s_barrier
	s_and_saveexec_b64 s[36:37], s[46:47]
	s_cbranch_execz .LBB3_13
; %bb.12:                               ;   in Loop: Header=BB3_9 Depth=2
	v_lshl_add_u64 v[6:7], v[2:3], 3, v[4:5]
	global_load_dwordx2 v[6:7], v[6:7], off
	v_mov_b32_e32 v8, s41
	ds_read_b64 v[8:9], v8 offset:8
	ds_read_b64 v[10:11], v1
	s_waitcnt vmcnt(0) lgkmcnt(0)
	v_fma_f64 v[6:7], -v[6:7], v[8:9], v[10:11]
	ds_write_b64 v1, v[6:7]
.LBB3_13:                               ;   in Loop: Header=BB3_9 Depth=2
	s_or_b64 exec, exec, s[36:37]
	s_add_i32 s46, s40, -1
	v_cmp_eq_u32_e32 vcc, s46, v0
	s_and_b64 s[48:49], vcc, s[34:35]
	s_and_saveexec_b64 s[36:37], s[48:49]
	s_cbranch_execz .LBB3_15
; %bb.14:                               ;   in Loop: Header=BB3_9 Depth=2
	global_load_dwordx2 v[6:7], v[4:5], off
	ds_read_b64 v[8:9], v1
	s_waitcnt vmcnt(0) lgkmcnt(0)
	v_div_scale_f64 v[10:11], s[48:49], v[6:7], v[6:7], v[8:9]
	v_rcp_f64_e32 v[12:13], v[10:11]
	v_div_scale_f64 v[14:15], vcc, v[8:9], v[6:7], v[8:9]
	v_fma_f64 v[16:17], -v[10:11], v[12:13], 1.0
	v_fmac_f64_e32 v[12:13], v[12:13], v[16:17]
	v_fma_f64 v[16:17], -v[10:11], v[12:13], 1.0
	v_fmac_f64_e32 v[12:13], v[12:13], v[16:17]
	v_mul_f64 v[16:17], v[14:15], v[12:13]
	v_fma_f64 v[10:11], -v[10:11], v[16:17], v[14:15]
	v_div_fmas_f64 v[10:11], v[10:11], v[12:13], v[16:17]
	v_div_fixup_f64 v[6:7], v[10:11], v[6:7], v[8:9]
	ds_write_b64 v1, v[6:7]
.LBB3_15:                               ;   in Loop: Header=BB3_9 Depth=2
	s_or_b64 exec, exec, s[36:37]
	s_cmp_le_i32 s46, s39
	v_cmp_le_u32_e32 vcc, s46, v0
	s_cselect_b64 s[36:37], -1, 0
	s_or_b64 s[36:37], vcc, s[36:37]
	s_nor_b64 s[48:49], s[2:3], s[36:37]
	s_waitcnt lgkmcnt(0)
	s_barrier
	s_and_saveexec_b64 s[36:37], s[48:49]
	s_cbranch_execz .LBB3_8
; %bb.16:                               ;   in Loop: Header=BB3_9 Depth=2
	v_add_u32_e32 v6, -1, v2
	v_mov_b32_e32 v7, v3
	v_lshl_add_u64 v[6:7], v[6:7], 3, v[4:5]
	global_load_dwordx2 v[6:7], v[6:7], off
	v_mov_b32_e32 v8, s41
	ds_read_b64 v[8:9], v8
	ds_read_b64 v[10:11], v1
	s_waitcnt vmcnt(0) lgkmcnt(0)
	v_fma_f64 v[6:7], -v[6:7], v[8:9], v[10:11]
	ds_write_b64 v1, v[6:7]
	s_branch .LBB3_8
.LBB3_17:                               ;   in Loop: Header=BB3_5 Depth=1
	s_add_i32 s46, s38, 0xfffffe00
	s_cmp_lt_i32 s38, 1
	s_cselect_b64 s[2:3], -1, 0
	s_and_b64 vcc, exec, s[2:3]
	s_waitcnt lgkmcnt(0)
	s_barrier
	s_cbranch_vccnz .LBB3_41
; %bb.18:                               ;   in Loop: Header=BB3_5 Depth=1
	v_ashrrev_i32_e32 v2, 31, v21
	v_mad_i64_i32 v[4:5], s[34:35], v21, -8, s[4:5]
	v_mov_b32_e32 v7, s33
	v_sub_co_u32_e32 v6, vcc, s14, v21
	s_mov_b64 s[34:35], 0
	s_nop 0
	v_subb_co_u32_e32 v7, vcc, v7, v2, vcc
	v_mov_b32_e32 v2, v21
	v_mov_b32_e32 v23, v0
	s_mov_b32 s47, s46
                                        ; implicit-def: $sgpr36_sgpr37
	s_branch .LBB3_21
.LBB3_19:                               ;   in Loop: Header=BB3_21 Depth=2
	v_mad_u64_u32 v[10:11], s[40:41], s6, v24, 0
	v_mov_b32_e32 v12, v11
	v_mad_u64_u32 v[12:13], s[40:41], s7, v24, v[12:13]
	v_mov_b32_e32 v11, v12
	v_lshl_add_u64 v[10:11], v[10:11], 3, s[12:13]
	global_load_dwordx2 v[12:13], v[10:11], off
	s_add_i32 s48, s47, 0xfffffe00
	s_cmp_lt_i32 s47, 1
	s_cselect_b64 s[40:41], -1, 0
	s_andn2_b64 s[36:37], s[36:37], exec
	s_and_b64 s[40:41], s[40:41], exec
	v_add_u32_e32 v23, 0xfffffe00, v23
	v_lshl_add_u64 v[4:5], v[4:5], 0, s[28:29]
	v_lshl_add_u64 v[6:7], v[6:7], 0, s[30:31]
	v_add_u32_e32 v2, 0xfffffe00, v2
	s_or_b64 s[36:37], s[36:37], s[40:41]
	s_mov_b32 s47, s48
	s_waitcnt vmcnt(0)
	v_add_f64 v[8:9], v[12:13], -v[8:9]
	global_store_dwordx2 v[10:11], v[8:9], off
.LBB3_20:                               ;   in Loop: Header=BB3_21 Depth=2
	s_or_b64 exec, exec, s[38:39]
	s_and_b64 s[38:39], exec, s[36:37]
	s_or_b64 s[34:35], s[38:39], s[34:35]
	s_andn2_b64 exec, exec, s[34:35]
	s_cbranch_execz .LBB3_40
.LBB3_21:                               ;   Parent Loop BB3_5 Depth=1
                                        ; =>  This Loop Header: Depth=2
                                        ;       Child Loop BB3_24 Depth 3
	v_add_u32_e32 v24, s47, v0
	v_cmp_lt_i32_e32 vcc, -1, v24
	s_or_b64 s[36:37], s[36:37], exec
	s_and_saveexec_b64 s[38:39], vcc
	s_cbranch_execz .LBB3_20
; %bb.22:                               ;   in Loop: Header=BB3_21 Depth=2
	v_mad_u64_u32 v[8:9], s[40:41], v6, v2, 0
	v_mov_b32_e32 v10, v9
	v_mad_u64_u32 v[10:11], s[40:41], v7, v2, v[10:11]
	v_mov_b32_e32 v9, v10
	v_lshlrev_b64 v[8:9], 2, v[8:9]
	v_and_b32_e32 v8, -8, v8
	v_lshl_add_u64 v[10:11], v[4:5], 0, v[8:9]
	v_mov_b64_e32 v[8:9], 0
	s_movk_i32 s48, 0x1000
	s_movk_i32 s49, 0x200
	s_branch .LBB3_24
.LBB3_23:                               ;   in Loop: Header=BB3_24 Depth=3
	s_or_b64 exec, exec, s[40:41]
	s_waitcnt lgkmcnt(0)
	v_add_f64 v[8:9], v[8:9], v[12:13]
	v_add_f64 v[8:9], v[8:9], v[14:15]
	;; [unrolled: 1-line block ×3, first 2 shown]
	s_add_i32 s48, s48, 32
	s_add_i32 s49, s49, -4
	v_add_f64 v[8:9], v[8:9], v[18:19]
	s_cmp_eq_u32 s49, 0
	v_lshl_add_u64 v[10:11], v[10:11], 0, 32
	s_cbranch_scc1 .LBB3_19
.LBB3_24:                               ;   Parent Loop BB3_5 Depth=1
                                        ;     Parent Loop BB3_21 Depth=2
                                        ; =>    This Inner Loop Header: Depth=3
	v_add_u32_e32 v18, s49, v23
	v_cmp_ne_u32_e32 vcc, s42, v18
	s_or_b64 s[40:41], s[26:27], vcc
                                        ; implicit-def: $vgpr12_vgpr13
	s_and_saveexec_b64 s[50:51], s[40:41]
	s_xor_b64 s[40:41], exec, s[50:51]
	s_cbranch_execz .LBB3_26
; %bb.25:                               ;   in Loop: Header=BB3_24 Depth=3
	global_load_dwordx2 v[12:13], v[10:11], off
	v_mov_b32_e32 v14, s48
	ds_read_b64 v[14:15], v14
	s_waitcnt vmcnt(0) lgkmcnt(0)
	v_mul_f64 v[12:13], v[12:13], v[14:15]
.LBB3_26:                               ;   in Loop: Header=BB3_24 Depth=3
	s_andn2_saveexec_b64 s[40:41], s[40:41]
; %bb.27:                               ;   in Loop: Header=BB3_24 Depth=3
	v_mov_b32_e32 v12, s48
	ds_read_b64 v[12:13], v12
; %bb.28:                               ;   in Loop: Header=BB3_24 Depth=3
	s_or_b64 exec, exec, s[40:41]
	v_cmp_ne_u32_e32 vcc, s43, v18
	s_or_b64 s[40:41], s[26:27], vcc
                                        ; implicit-def: $vgpr14_vgpr15
	s_and_saveexec_b64 s[50:51], s[40:41]
	s_xor_b64 s[40:41], exec, s[50:51]
	s_cbranch_execz .LBB3_30
; %bb.29:                               ;   in Loop: Header=BB3_24 Depth=3
	global_load_dwordx2 v[14:15], v[10:11], off offset:8
	v_mov_b32_e32 v16, s48
	ds_read_b64 v[16:17], v16 offset:8
	s_waitcnt vmcnt(0) lgkmcnt(0)
	v_mul_f64 v[14:15], v[14:15], v[16:17]
.LBB3_30:                               ;   in Loop: Header=BB3_24 Depth=3
	s_andn2_saveexec_b64 s[40:41], s[40:41]
; %bb.31:                               ;   in Loop: Header=BB3_24 Depth=3
	v_mov_b32_e32 v14, s48
	ds_read_b64 v[14:15], v14 offset:8
; %bb.32:                               ;   in Loop: Header=BB3_24 Depth=3
	s_or_b64 exec, exec, s[40:41]
	v_cmp_ne_u32_e32 vcc, s44, v18
	s_or_b64 s[40:41], s[26:27], vcc
                                        ; implicit-def: $vgpr16_vgpr17
	s_and_saveexec_b64 s[50:51], s[40:41]
	s_xor_b64 s[40:41], exec, s[50:51]
	s_cbranch_execz .LBB3_34
; %bb.33:                               ;   in Loop: Header=BB3_24 Depth=3
	global_load_dwordx2 v[16:17], v[10:11], off offset:16
	v_mov_b32_e32 v19, s48
	ds_read_b64 v[26:27], v19 offset:16
	s_waitcnt vmcnt(0) lgkmcnt(0)
	v_mul_f64 v[16:17], v[16:17], v[26:27]
.LBB3_34:                               ;   in Loop: Header=BB3_24 Depth=3
	s_andn2_saveexec_b64 s[40:41], s[40:41]
; %bb.35:                               ;   in Loop: Header=BB3_24 Depth=3
	v_mov_b32_e32 v16, s48
	ds_read_b64 v[16:17], v16 offset:16
; %bb.36:                               ;   in Loop: Header=BB3_24 Depth=3
	s_or_b64 exec, exec, s[40:41]
	v_cmp_ne_u32_e32 vcc, s45, v18
	s_or_b64 s[40:41], s[26:27], vcc
                                        ; implicit-def: $vgpr18_vgpr19
	s_and_saveexec_b64 s[50:51], s[40:41]
	s_xor_b64 s[40:41], exec, s[50:51]
	s_cbranch_execz .LBB3_38
; %bb.37:                               ;   in Loop: Header=BB3_24 Depth=3
	global_load_dwordx2 v[18:19], v[10:11], off offset:24
	v_mov_b32_e32 v25, s48
	ds_read_b64 v[26:27], v25 offset:24
	s_waitcnt vmcnt(0) lgkmcnt(0)
	v_mul_f64 v[18:19], v[18:19], v[26:27]
.LBB3_38:                               ;   in Loop: Header=BB3_24 Depth=3
	s_andn2_saveexec_b64 s[40:41], s[40:41]
	s_cbranch_execz .LBB3_23
; %bb.39:                               ;   in Loop: Header=BB3_24 Depth=3
	v_mov_b32_e32 v18, s48
	ds_read_b64 v[18:19], v18 offset:24
	s_branch .LBB3_23
.LBB3_40:                               ;   in Loop: Header=BB3_5 Depth=1
	s_or_b64 exec, exec, s[34:35]
.LBB3_41:                               ;   in Loop: Header=BB3_5 Depth=1
	s_and_saveexec_b64 s[34:35], s[0:1]
	s_cbranch_execz .LBB3_4
; %bb.42:                               ;   in Loop: Header=BB3_5 Depth=1
	ds_read_b64 v[4:5], v1
	v_mad_u64_u32 v[6:7], s[0:1], s6, v22, 0
	v_mov_b32_e32 v2, v7
	v_mad_u64_u32 v[8:9], s[0:1], s7, v22, v[2:3]
	v_mov_b32_e32 v7, v8
	v_lshl_add_u64 v[6:7], v[6:7], 3, s[12:13]
	s_waitcnt lgkmcnt(0)
	global_store_dwordx2 v[6:7], v[4:5], off
	s_branch .LBB3_4
.LBB3_43:
	s_mov_b64 s[0:1], 0
.LBB3_44:
	s_andn2_b64 vcc, exec, s[0:1]
	s_cbranch_vccnz .LBB3_92
; %bb.45:
	s_andn2_b64 vcc, exec, s[16:17]
	s_cbranch_vccnz .LBB3_92
; %bb.46:
	v_mov_b32_e32 v3, 0
	v_mov_b32_e32 v1, v3
	v_mad_u64_u32 v[4:5], s[0:1], v0, v0, v[0:1]
	v_lshlrev_b32_e32 v2, 10, v0
	s_mov_b64 s[0:1], 0x40200
	v_lshl_add_u64 v[6:7], v[2:3], 0, s[0:1]
	v_or_b32_e32 v2, 0x200, v0
	v_lshlrev_b32_e32 v16, 3, v0
	s_mov_b32 s14, 0
	v_add_u32_e32 v1, 0x201, v0
	s_xor_b64 s[4:5], s[8:9], -1
	s_mov_b64 s[26:27], 0x200
	s_mov_b64 s[28:29], 0x80000
	v_mov_b64_e32 v[8:9], v[2:3]
	s_mov_b64 s[30:31], s[10:11]
	s_branch .LBB3_48
.LBB3_47:                               ;   in Loop: Header=BB3_48 Depth=1
	s_or_b64 exec, exec, s[34:35]
	s_add_u32 s30, s30, 0x1000
	v_lshl_add_u64 v[10:11], v[6:7], 0, s[28:29]
	s_addc_u32 s31, s31, 0
	v_lshl_add_u64 v[4:5], v[4:5], 0, v[6:7]
	v_lshl_add_u64 v[8:9], v[8:9], 0, s[26:27]
	v_add_u32_e32 v1, 0x200, v1
	s_and_b64 vcc, exec, s[2:3]
	v_mov_b64_e32 v[6:7], v[10:11]
	s_mov_b32 s14, s33
	s_barrier
	s_cbranch_vccnz .LBB3_92
.LBB3_48:                               ; =>This Loop Header: Depth=1
                                        ;     Child Loop BB3_52 Depth 2
                                        ;     Child Loop BB3_66 Depth 2
                                        ;       Child Loop BB3_69 Depth 3
	v_add_u32_e32 v17, s14, v0
	v_cmp_le_i32_e32 vcc, s15, v17
	v_cmp_gt_i32_e64 s[0:1], s15, v17
	s_and_saveexec_b64 s[2:3], s[0:1]
	s_cbranch_execz .LBB3_50
; %bb.49:                               ;   in Loop: Header=BB3_48 Depth=1
	v_mad_u64_u32 v[10:11], s[34:35], s6, v17, 0
	v_mov_b32_e32 v2, v11
	v_mad_u64_u32 v[12:13], s[34:35], s7, v17, v[2:3]
	v_mov_b32_e32 v11, v12
	v_lshl_add_u64 v[10:11], v[10:11], 3, s[12:13]
	global_load_dwordx2 v[10:11], v[10:11], off
	s_waitcnt vmcnt(0)
	ds_write_b64 v16, v[10:11]
.LBB3_50:                               ;   in Loop: Header=BB3_48 Depth=1
	s_or_b64 exec, exec, s[2:3]
	v_or_b32_e32 v2, s14, v0
	v_add_u32_e32 v12, 1, v2
	v_mad_u64_u32 v[12:13], s[34:35], v12, v2, 0
	v_lshlrev_b64 v[10:11], 2, v[4:5]
	v_lshlrev_b64 v[12:13], 2, v[12:13]
	v_and_b32_e32 v10, -8, v10
	v_lshl_add_u64 v[14:15], v[2:3], 3, s[10:11]
	v_and_b32_e32 v12, -8, v12
	v_lshl_add_u64 v[10:11], s[30:31], 0, v[10:11]
	v_cmp_le_i32_e64 s[2:3], s15, v2
	v_lshl_add_u64 v[12:13], v[14:15], 0, v[12:13]
	s_mov_b32 s33, 0
	s_xor_b64 s[34:35], vcc, -1
	s_mov_b32 s38, 0
	s_waitcnt lgkmcnt(0)
	s_barrier
	s_branch .LBB3_52
.LBB3_51:                               ;   in Loop: Header=BB3_52 Depth=2
	s_or_b64 exec, exec, s[36:37]
	s_add_i32 s33, s33, 16
	s_add_i32 s38, s39, 1
	s_cmpk_eq_i32 s38, 0x200
	v_lshl_add_u64 v[10:11], v[10:11], 0, 16
	s_cbranch_scc1 .LBB3_62
.LBB3_52:                               ;   Parent Loop BB3_48 Depth=1
                                        ; =>  This Inner Loop Header: Depth=2
	v_cmp_ne_u32_e32 vcc, s38, v0
	s_or_b64 s[36:37], s[8:9], vcc
	s_nor_b64 s[40:41], s[36:37], s[2:3]
	s_and_saveexec_b64 s[36:37], s[40:41]
	s_cbranch_execz .LBB3_54
; %bb.53:                               ;   in Loop: Header=BB3_52 Depth=2
	global_load_dwordx2 v[14:15], v[12:13], off
	ds_read_b64 v[18:19], v16
	s_waitcnt vmcnt(0) lgkmcnt(0)
	v_div_scale_f64 v[20:21], s[40:41], v[14:15], v[14:15], v[18:19]
	v_rcp_f64_e32 v[22:23], v[20:21]
	v_div_scale_f64 v[24:25], vcc, v[18:19], v[14:15], v[18:19]
	v_fma_f64 v[26:27], -v[20:21], v[22:23], 1.0
	v_fmac_f64_e32 v[22:23], v[22:23], v[26:27]
	v_fma_f64 v[26:27], -v[20:21], v[22:23], 1.0
	v_fmac_f64_e32 v[22:23], v[22:23], v[26:27]
	v_mul_f64 v[26:27], v[24:25], v[22:23]
	v_fma_f64 v[20:21], -v[20:21], v[26:27], v[24:25]
	v_div_fmas_f64 v[20:21], v[20:21], v[22:23], v[26:27]
	v_div_fixup_f64 v[14:15], v[20:21], v[14:15], v[18:19]
	ds_write_b64 v16, v[14:15]
.LBB3_54:                               ;   in Loop: Header=BB3_52 Depth=2
	s_or_b64 exec, exec, s[36:37]
	v_cmp_lt_u32_e32 vcc, s38, v0
	s_waitcnt lgkmcnt(0)
	s_barrier
	s_and_saveexec_b64 s[36:37], vcc
	s_cbranch_execz .LBB3_57
; %bb.55:                               ;   in Loop: Header=BB3_52 Depth=2
	s_add_i32 s39, s14, s38
	s_cmp_lt_i32 s39, s15
	s_cselect_b64 s[40:41], -1, 0
	s_and_b64 s[40:41], s[34:35], s[40:41]
	s_and_b64 exec, exec, s[40:41]
	s_cbranch_execz .LBB3_57
; %bb.56:                               ;   in Loop: Header=BB3_52 Depth=2
	global_load_dwordx2 v[14:15], v[10:11], off
	v_mov_b32_e32 v2, s33
	ds_read_b64 v[18:19], v2
	ds_read_b64 v[20:21], v16
	s_waitcnt vmcnt(0) lgkmcnt(0)
	v_fma_f64 v[14:15], -v[14:15], v[18:19], v[20:21]
	ds_write_b64 v16, v[14:15]
.LBB3_57:                               ;   in Loop: Header=BB3_52 Depth=2
	s_or_b64 exec, exec, s[36:37]
	s_add_i32 s39, s38, 1
	v_cmp_ne_u32_e32 vcc, s39, v0
	s_or_b64 s[36:37], s[8:9], vcc
	s_nor_b64 s[40:41], s[36:37], s[2:3]
	s_and_saveexec_b64 s[36:37], s[40:41]
	s_cbranch_execz .LBB3_59
; %bb.58:                               ;   in Loop: Header=BB3_52 Depth=2
	global_load_dwordx2 v[14:15], v[12:13], off
	ds_read_b64 v[18:19], v16
	s_waitcnt vmcnt(0) lgkmcnt(0)
	v_div_scale_f64 v[20:21], s[40:41], v[14:15], v[14:15], v[18:19]
	v_rcp_f64_e32 v[22:23], v[20:21]
	v_div_scale_f64 v[24:25], vcc, v[18:19], v[14:15], v[18:19]
	v_fma_f64 v[26:27], -v[20:21], v[22:23], 1.0
	v_fmac_f64_e32 v[22:23], v[22:23], v[26:27]
	v_fma_f64 v[26:27], -v[20:21], v[22:23], 1.0
	v_fmac_f64_e32 v[22:23], v[22:23], v[26:27]
	v_mul_f64 v[26:27], v[24:25], v[22:23]
	v_fma_f64 v[20:21], -v[20:21], v[26:27], v[24:25]
	v_div_fmas_f64 v[20:21], v[20:21], v[22:23], v[26:27]
	v_div_fixup_f64 v[14:15], v[20:21], v[14:15], v[18:19]
	ds_write_b64 v16, v[14:15]
.LBB3_59:                               ;   in Loop: Header=BB3_52 Depth=2
	s_or_b64 exec, exec, s[36:37]
	v_cmp_lt_u32_e32 vcc, s39, v0
	s_waitcnt lgkmcnt(0)
	s_barrier
	s_and_saveexec_b64 s[36:37], vcc
	s_cbranch_execz .LBB3_51
; %bb.60:                               ;   in Loop: Header=BB3_52 Depth=2
	s_add_i32 s38, s14, s38
	s_add_i32 s38, s38, 1
	s_cmp_lt_i32 s38, s15
	s_cselect_b64 s[40:41], -1, 0
	s_and_b64 s[40:41], s[34:35], s[40:41]
	s_and_b64 exec, exec, s[40:41]
	s_cbranch_execz .LBB3_51
; %bb.61:                               ;   in Loop: Header=BB3_52 Depth=2
	global_load_dwordx2 v[14:15], v[10:11], off offset:8
	v_mov_b32_e32 v2, s33
	ds_read_b64 v[18:19], v2 offset:8
	ds_read_b64 v[20:21], v16
	s_waitcnt vmcnt(0) lgkmcnt(0)
	v_fma_f64 v[14:15], -v[14:15], v[18:19], v[20:21]
	ds_write_b64 v16, v[14:15]
	s_branch .LBB3_51
.LBB3_62:                               ;   in Loop: Header=BB3_48 Depth=1
	s_add_i32 s33, s14, 0x200
	s_cmp_ge_i32 s33, s15
	s_cselect_b64 s[2:3], -1, 0
	s_and_b64 vcc, exec, s[2:3]
	s_waitcnt lgkmcnt(0)
	s_barrier
	s_cbranch_vccnz .LBB3_90
; %bb.63:                               ;   in Loop: Header=BB3_48 Depth=1
	s_mov_b64 s[34:35], 0
	v_mov_b32_e32 v2, v1
	v_mov_b64_e32 v[10:11], v[8:9]
	v_mov_b32_e32 v18, v0
	s_mov_b32 s42, s33
                                        ; implicit-def: $sgpr36_sgpr37
	s_branch .LBB3_66
.LBB3_64:                               ;   in Loop: Header=BB3_66 Depth=2
	v_mad_u64_u32 v[14:15], s[40:41], s6, v19, 0
	v_mov_b32_e32 v20, v15
	v_mad_u64_u32 v[20:21], s[40:41], s7, v19, v[20:21]
	v_mov_b32_e32 v15, v20
	v_lshl_add_u64 v[14:15], v[14:15], 3, s[12:13]
	global_load_dwordx2 v[20:21], v[14:15], off
	s_addk_i32 s42, 0x200
	s_cmp_ge_i32 s42, s15
	s_cselect_b64 s[40:41], -1, 0
	s_andn2_b64 s[36:37], s[36:37], exec
	s_and_b64 s[40:41], s[40:41], exec
	v_lshl_add_u64 v[10:11], v[10:11], 0, s[26:27]
	v_add_u32_e32 v2, 0x200, v2
	s_or_b64 s[36:37], s[36:37], s[40:41]
	s_waitcnt vmcnt(0)
	v_add_f64 v[12:13], v[20:21], -v[12:13]
	global_store_dwordx2 v[14:15], v[12:13], off
.LBB3_65:                               ;   in Loop: Header=BB3_66 Depth=2
	s_or_b64 exec, exec, s[38:39]
	s_and_b64 s[38:39], exec, s[36:37]
	s_or_b64 s[34:35], s[38:39], s[34:35]
	s_andn2_b64 exec, exec, s[34:35]
	s_cbranch_execz .LBB3_89
.LBB3_66:                               ;   Parent Loop BB3_48 Depth=1
                                        ; =>  This Loop Header: Depth=2
                                        ;       Child Loop BB3_69 Depth 3
	v_add_u32_e32 v19, s42, v0
	v_cmp_gt_i32_e32 vcc, s15, v19
	s_or_b64 s[36:37], s[36:37], exec
	s_and_saveexec_b64 s[38:39], vcc
	s_cbranch_execz .LBB3_65
; %bb.67:                               ;   in Loop: Header=BB3_66 Depth=2
	v_mad_u64_u32 v[12:13], s[40:41], v10, v2, 0
	v_mov_b32_e32 v14, v13
	v_mad_u64_u32 v[14:15], s[40:41], v11, v2, v[14:15]
	v_mov_b32_e32 v13, v14
	v_lshlrev_b64 v[12:13], 2, v[12:13]
	v_and_b32_e32 v12, -8, v12
	v_lshl_add_u64 v[14:15], s[30:31], 0, v[12:13]
	v_add_u32_e32 v20, 0x1fd, v18
	v_add_u32_e32 v21, 0x1fe, v18
	v_add_u32_e32 v22, 0x1ff, v18
	v_add_u32_e32 v18, 0x200, v18
	v_mov_b64_e32 v[12:13], 0
	s_mov_b32 s43, 0
	s_mov_b32 s44, 0
	s_branch .LBB3_69
.LBB3_68:                               ;   in Loop: Header=BB3_69 Depth=3
	s_or_b64 exec, exec, s[40:41]
	s_add_i32 s44, s44, 4
	s_add_i32 s43, s43, 32
	s_cmpk_eq_i32 s44, 0x200
	v_lshl_add_u64 v[14:15], v[14:15], 0, 32
	s_cbranch_scc1 .LBB3_64
.LBB3_69:                               ;   Parent Loop BB3_48 Depth=1
                                        ;     Parent Loop BB3_66 Depth=2
                                        ; =>    This Inner Loop Header: Depth=3
	v_cmp_ne_u32_e32 vcc, s44, v18
	s_add_i32 s45, s14, s44
	s_or_b64 s[40:41], s[4:5], vcc
	s_and_saveexec_b64 s[46:47], s[40:41]
	s_xor_b64 s[40:41], exec, s[46:47]
	s_cbranch_execz .LBB3_72
; %bb.70:                               ;   in Loop: Header=BB3_69 Depth=3
	s_cmp_ge_i32 s45, s15
	s_cbranch_scc1 .LBB3_72
; %bb.71:                               ;   in Loop: Header=BB3_69 Depth=3
	global_load_dwordx2 v[24:25], v[14:15], off
	v_mov_b32_e32 v23, s43
	ds_read_b64 v[26:27], v23
	s_waitcnt vmcnt(0) lgkmcnt(0)
	v_fmac_f64_e32 v[12:13], v[24:25], v[26:27]
.LBB3_72:                               ;   in Loop: Header=BB3_69 Depth=3
	s_andn2_saveexec_b64 s[40:41], s[40:41]
	s_cbranch_execz .LBB3_74
; %bb.73:                               ;   in Loop: Header=BB3_69 Depth=3
	v_mov_b32_e32 v23, s43
	ds_read_b64 v[24:25], v23
	s_waitcnt lgkmcnt(0)
	v_add_f64 v[12:13], v[12:13], v[24:25]
.LBB3_74:                               ;   in Loop: Header=BB3_69 Depth=3
	s_or_b64 exec, exec, s[40:41]
	v_cmp_ne_u32_e32 vcc, s44, v22
	s_or_b64 s[40:41], s[4:5], vcc
	s_and_saveexec_b64 s[46:47], s[40:41]
	s_xor_b64 s[40:41], exec, s[46:47]
	s_cbranch_execz .LBB3_77
; %bb.75:                               ;   in Loop: Header=BB3_69 Depth=3
	s_add_i32 s46, s45, 1
	s_cmp_ge_i32 s46, s15
	s_cbranch_scc1 .LBB3_77
; %bb.76:                               ;   in Loop: Header=BB3_69 Depth=3
	global_load_dwordx2 v[24:25], v[14:15], off offset:8
	v_mov_b32_e32 v23, s43
	ds_read_b64 v[26:27], v23 offset:8
	s_waitcnt vmcnt(0) lgkmcnt(0)
	v_fmac_f64_e32 v[12:13], v[24:25], v[26:27]
.LBB3_77:                               ;   in Loop: Header=BB3_69 Depth=3
	s_andn2_saveexec_b64 s[40:41], s[40:41]
	s_cbranch_execz .LBB3_79
; %bb.78:                               ;   in Loop: Header=BB3_69 Depth=3
	v_mov_b32_e32 v23, s43
	ds_read_b64 v[24:25], v23 offset:8
	s_waitcnt lgkmcnt(0)
	v_add_f64 v[12:13], v[12:13], v[24:25]
.LBB3_79:                               ;   in Loop: Header=BB3_69 Depth=3
	s_or_b64 exec, exec, s[40:41]
	v_cmp_ne_u32_e32 vcc, s44, v21
	s_or_b64 s[40:41], s[4:5], vcc
	s_and_saveexec_b64 s[46:47], s[40:41]
	s_xor_b64 s[40:41], exec, s[46:47]
	s_cbranch_execz .LBB3_82
; %bb.80:                               ;   in Loop: Header=BB3_69 Depth=3
	s_add_i32 s46, s45, 2
	s_cmp_ge_i32 s46, s15
	s_cbranch_scc1 .LBB3_82
; %bb.81:                               ;   in Loop: Header=BB3_69 Depth=3
	global_load_dwordx2 v[24:25], v[14:15], off offset:16
	v_mov_b32_e32 v23, s43
	ds_read_b64 v[26:27], v23 offset:16
	s_waitcnt vmcnt(0) lgkmcnt(0)
	v_fmac_f64_e32 v[12:13], v[24:25], v[26:27]
.LBB3_82:                               ;   in Loop: Header=BB3_69 Depth=3
	s_andn2_saveexec_b64 s[40:41], s[40:41]
	s_cbranch_execz .LBB3_84
; %bb.83:                               ;   in Loop: Header=BB3_69 Depth=3
	v_mov_b32_e32 v23, s43
	ds_read_b64 v[24:25], v23 offset:16
	s_waitcnt lgkmcnt(0)
	v_add_f64 v[12:13], v[12:13], v[24:25]
.LBB3_84:                               ;   in Loop: Header=BB3_69 Depth=3
	s_or_b64 exec, exec, s[40:41]
	v_cmp_ne_u32_e32 vcc, s44, v20
	s_or_b64 s[40:41], s[4:5], vcc
	s_and_saveexec_b64 s[46:47], s[40:41]
	s_xor_b64 s[40:41], exec, s[46:47]
	s_cbranch_execz .LBB3_87
; %bb.85:                               ;   in Loop: Header=BB3_69 Depth=3
	s_add_i32 s45, s45, 3
	s_cmp_ge_i32 s45, s15
	s_cbranch_scc1 .LBB3_87
; %bb.86:                               ;   in Loop: Header=BB3_69 Depth=3
	global_load_dwordx2 v[24:25], v[14:15], off offset:24
	v_mov_b32_e32 v23, s43
	ds_read_b64 v[26:27], v23 offset:24
	s_waitcnt vmcnt(0) lgkmcnt(0)
	v_fmac_f64_e32 v[12:13], v[24:25], v[26:27]
.LBB3_87:                               ;   in Loop: Header=BB3_69 Depth=3
	s_andn2_saveexec_b64 s[40:41], s[40:41]
	s_cbranch_execz .LBB3_68
; %bb.88:                               ;   in Loop: Header=BB3_69 Depth=3
	v_mov_b32_e32 v23, s43
	ds_read_b64 v[24:25], v23 offset:24
	s_waitcnt lgkmcnt(0)
	v_add_f64 v[12:13], v[12:13], v[24:25]
	s_branch .LBB3_68
.LBB3_89:                               ;   in Loop: Header=BB3_48 Depth=1
	s_or_b64 exec, exec, s[34:35]
.LBB3_90:                               ;   in Loop: Header=BB3_48 Depth=1
	s_and_saveexec_b64 s[34:35], s[0:1]
	s_cbranch_execz .LBB3_47
; %bb.91:                               ;   in Loop: Header=BB3_48 Depth=1
	ds_read_b64 v[10:11], v16
	v_mad_u64_u32 v[12:13], s[0:1], s6, v17, 0
	v_mov_b32_e32 v2, v13
	v_mad_u64_u32 v[14:15], s[0:1], s7, v17, v[2:3]
	v_mov_b32_e32 v13, v14
	v_lshl_add_u64 v[12:13], v[12:13], 3, s[12:13]
	s_waitcnt lgkmcnt(0)
	global_store_dwordx2 v[12:13], v[10:11], off
	s_branch .LBB3_47
.LBB3_92:
	s_mov_b64 s[0:1], 0
.LBB3_93:
	s_andn2_b64 vcc, exec, s[0:1]
	s_cbranch_vccnz .LBB3_180
; %bb.94:
	s_mov_b64 s[0:1], -1
	s_and_b64 vcc, exec, s[22:23]
	s_cbranch_vccz .LBB3_134
; %bb.95:
	s_andn2_b64 vcc, exec, s[16:17]
	s_cbranch_vccnz .LBB3_133
; %bb.96:
	s_lshl_b32 s22, s15, 1
	s_or_b32 s14, s22, 1
	s_add_u32 s0, s20, s24
	s_addc_u32 s1, s21, s25
	s_add_u32 s18, s18, s0
	s_addc_u32 s19, s19, s1
	s_ashr_i32 s23, s22, 31
	s_lshl_b64 s[0:1], s[22:23], 9
	s_add_u32 s42, s0, 0xfffbfe00
	s_addc_u32 s43, s1, -1
	s_lshl_b64 s[2:3], s[22:23], 1
	s_add_u32 s20, s2, -6
	s_addc_u32 s21, s3, -1
	s_add_u32 s38, s0, 0xfffc0200
	s_addc_u32 s39, s1, -1
	v_mov_b32_e32 v1, 0
	s_add_u32 s24, s2, -2
	v_lshlrev_b32_e32 v2, 3, v0
	v_mov_b32_e32 v3, v1
	s_addc_u32 s25, s3, -1
	v_lshl_add_u64 v[4:5], s[18:19], 0, v[2:3]
	s_add_u32 s26, s18, -8
	v_lshl_add_u64 v[6:7], v[4:5], 0, -8
	s_addc_u32 s27, s19, -1
	v_or_b32_e32 v8, 0x200, v0
	s_mov_b64 s[28:29], 0
	s_mov_b64 s[30:31], 0x200
	;; [unrolled: 1-line block ×6, first 2 shown]
	s_branch .LBB3_98
.LBB3_97:                               ;   in Loop: Header=BB3_98 Depth=1
	s_or_b64 exec, exec, s[44:45]
	s_add_u32 s0, s42, 0xfff80000
	s_addc_u32 s1, s43, -1
	s_add_u32 s22, s22, s42
	s_addc_u32 s23, s23, s43
	s_add_u32 s20, s20, 0xfffff800
	s_addc_u32 s21, s21, -1
	s_add_u32 s42, s38, 0xfff80000
	s_addc_u32 s43, s39, -1
	s_add_u32 s28, s28, s38
	s_addc_u32 s29, s29, s39
	s_add_u32 s24, s24, 0xfffff800
	s_addc_u32 s25, s25, -1
	s_add_u32 s40, s40, 0xfffffe00
	s_addc_u32 s41, s41, -1
	v_add_u32_e32 v8, 0x200, v8
	s_and_b64 vcc, exec, s[4:5]
	s_mov_b64 s[38:39], s[42:43]
	s_mov_b64 s[44:45], s[2:3]
	;; [unrolled: 1-line block ×3, first 2 shown]
	s_barrier
	s_cbranch_vccnz .LBB3_133
.LBB3_98:                               ; =>This Loop Header: Depth=1
                                        ;     Child Loop BB3_102 Depth 2
                                        ;     Child Loop BB3_116 Depth 2
                                        ;       Child Loop BB3_118 Depth 3
	v_add_u32_e32 v3, s44, v0
	v_cmp_le_i32_e64 s[2:3], s15, v3
	v_cmp_gt_i32_e64 s[0:1], s15, v3
	s_and_saveexec_b64 s[4:5], s[0:1]
	s_cbranch_execz .LBB3_100
; %bb.99:                               ;   in Loop: Header=BB3_98 Depth=1
	v_mad_u64_u32 v[10:11], s[46:47], s6, v3, 0
	v_mov_b32_e32 v12, v11
	v_mad_u64_u32 v[12:13], s[46:47], s7, v3, v[12:13]
	v_mov_b32_e32 v11, v12
	v_lshl_add_u64 v[10:11], v[10:11], 3, s[12:13]
	global_load_dwordx2 v[10:11], v[10:11], off
	s_waitcnt vmcnt(0)
	ds_write_b64 v2, v[10:11]
.LBB3_100:                              ;   in Loop: Header=BB3_98 Depth=1
	s_or_b64 exec, exec, s[4:5]
	v_or_b32_e32 v9, s44, v0
	v_sub_u32_e32 v10, s14, v9
	v_ashrrev_i32_e32 v13, 31, v10
	v_mad_u64_u32 v[10:11], s[46:47], v10, v9, 0
	v_mov_b32_e32 v12, v11
	v_mad_u64_u32 v[12:13], s[46:47], v13, v9, v[12:13]
	v_mov_b32_e32 v11, v12
	v_lshlrev_b64 v[10:11], 2, v[10:11]
	v_and_b32_e32 v10, -8, v10
	v_cmp_le_i32_e64 s[4:5], s15, v9
	v_lshl_add_u64 v[10:11], s[10:11], 0, v[10:11]
	s_mov_b32 s33, 0
	s_mov_b64 s[54:55], 0
	s_mov_b64 s[46:47], s[28:29]
	;; [unrolled: 1-line block ×3, first 2 shown]
	v_mov_b64_e32 v[12:13], v[4:5]
	s_mov_b64 s[48:49], s[22:23]
	s_mov_b64 s[52:53], s[20:21]
	v_mov_b64_e32 v[14:15], v[6:7]
	s_waitcnt lgkmcnt(0)
	s_barrier
	s_branch .LBB3_102
.LBB3_101:                              ;   in Loop: Header=BB3_102 Depth=2
	s_or_b64 exec, exec, s[56:57]
	s_add_i32 s33, s33, 16
	s_add_u32 s56, s52, -8
	s_addc_u32 s57, s53, -1
	s_add_u32 s48, s48, s52
	s_addc_u32 s49, s49, s53
	s_add_u32 s52, s50, -8
	s_addc_u32 s53, s51, -1
	s_add_u32 s46, s46, s50
	s_addc_u32 s47, s47, s51
	s_add_u32 s54, s58, 1
	s_addc_u32 s55, s55, 0
	v_lshl_add_u64 v[14:15], v[14:15], 0, -16
	v_lshl_add_u64 v[12:13], v[12:13], 0, -16
	s_cmpk_eq_i32 s54, 0x200
	s_mov_b64 s[50:51], s[52:53]
	s_mov_b64 s[52:53], s[56:57]
	s_cbranch_scc1 .LBB3_112
.LBB3_102:                              ;   Parent Loop BB3_98 Depth=1
                                        ; =>  This Inner Loop Header: Depth=2
	v_cmp_ne_u32_e32 vcc, s54, v0
	s_or_b64 s[56:57], s[8:9], vcc
	s_nor_b64 s[58:59], s[56:57], s[4:5]
	s_and_saveexec_b64 s[56:57], s[58:59]
	s_cbranch_execz .LBB3_104
; %bb.103:                              ;   in Loop: Header=BB3_102 Depth=2
	global_load_dwordx2 v[16:17], v[10:11], off
	ds_read_b64 v[18:19], v2
	s_waitcnt vmcnt(0) lgkmcnt(0)
	v_div_scale_f64 v[20:21], s[58:59], v[16:17], v[16:17], v[18:19]
	v_rcp_f64_e32 v[22:23], v[20:21]
	v_div_scale_f64 v[24:25], vcc, v[18:19], v[16:17], v[18:19]
	v_fma_f64 v[26:27], -v[20:21], v[22:23], 1.0
	v_fmac_f64_e32 v[22:23], v[22:23], v[26:27]
	v_fma_f64 v[26:27], -v[20:21], v[22:23], 1.0
	v_fmac_f64_e32 v[22:23], v[22:23], v[26:27]
	v_mul_f64 v[26:27], v[24:25], v[22:23]
	v_fma_f64 v[20:21], -v[20:21], v[26:27], v[24:25]
	v_div_fmas_f64 v[20:21], v[20:21], v[22:23], v[26:27]
	v_div_fixup_f64 v[16:17], v[20:21], v[16:17], v[18:19]
	ds_write_b64 v2, v[16:17]
.LBB3_104:                              ;   in Loop: Header=BB3_102 Depth=2
	s_or_b64 exec, exec, s[56:57]
	v_cmp_lt_u32_e32 vcc, s54, v0
	s_waitcnt lgkmcnt(0)
	s_barrier
	s_and_saveexec_b64 s[56:57], vcc
	s_cbranch_execz .LBB3_107
; %bb.105:                              ;   in Loop: Header=BB3_102 Depth=2
	s_add_i32 s58, s44, s54
	s_cmp_lt_i32 s58, s15
	s_cselect_b64 s[58:59], -1, 0
	s_xor_b64 s[60:61], s[2:3], -1
	s_and_b64 s[58:59], s[60:61], s[58:59]
	s_and_b64 exec, exec, s[58:59]
	s_cbranch_execz .LBB3_107
; %bb.106:                              ;   in Loop: Header=BB3_102 Depth=2
	s_lshl_b64 s[58:59], s[46:47], 2
	s_and_b32 s58, s58, -8
	v_lshl_add_u64 v[16:17], v[12:13], 0, s[58:59]
	global_load_dwordx2 v[16:17], v[16:17], off
	v_mov_b32_e32 v9, s33
	ds_read_b64 v[18:19], v9
	ds_read_b64 v[20:21], v2
	s_waitcnt vmcnt(0) lgkmcnt(0)
	v_fma_f64 v[16:17], -v[16:17], v[18:19], v[20:21]
	ds_write_b64 v2, v[16:17]
.LBB3_107:                              ;   in Loop: Header=BB3_102 Depth=2
	s_or_b64 exec, exec, s[56:57]
	s_add_u32 s58, s54, 1
	v_cmp_ne_u32_e32 vcc, s58, v0
	s_addc_u32 s55, s55, 0
	s_or_b64 s[56:57], s[8:9], vcc
	s_nor_b64 s[60:61], s[56:57], s[4:5]
	s_and_saveexec_b64 s[56:57], s[60:61]
	s_cbranch_execz .LBB3_109
; %bb.108:                              ;   in Loop: Header=BB3_102 Depth=2
	global_load_dwordx2 v[16:17], v[10:11], off
	ds_read_b64 v[18:19], v2
	s_waitcnt vmcnt(0) lgkmcnt(0)
	v_div_scale_f64 v[20:21], s[60:61], v[16:17], v[16:17], v[18:19]
	v_rcp_f64_e32 v[22:23], v[20:21]
	v_div_scale_f64 v[24:25], vcc, v[18:19], v[16:17], v[18:19]
	v_fma_f64 v[26:27], -v[20:21], v[22:23], 1.0
	v_fmac_f64_e32 v[22:23], v[22:23], v[26:27]
	v_fma_f64 v[26:27], -v[20:21], v[22:23], 1.0
	v_fmac_f64_e32 v[22:23], v[22:23], v[26:27]
	v_mul_f64 v[26:27], v[24:25], v[22:23]
	v_fma_f64 v[20:21], -v[20:21], v[26:27], v[24:25]
	v_div_fmas_f64 v[20:21], v[20:21], v[22:23], v[26:27]
	v_div_fixup_f64 v[16:17], v[20:21], v[16:17], v[18:19]
	ds_write_b64 v2, v[16:17]
.LBB3_109:                              ;   in Loop: Header=BB3_102 Depth=2
	s_or_b64 exec, exec, s[56:57]
	v_cmp_lt_u32_e32 vcc, s58, v0
	s_waitcnt lgkmcnt(0)
	s_barrier
	s_and_saveexec_b64 s[56:57], vcc
	s_cbranch_execz .LBB3_101
; %bb.110:                              ;   in Loop: Header=BB3_102 Depth=2
	s_add_i32 s54, s44, s54
	s_add_i32 s54, s54, 1
	s_cmp_lt_i32 s54, s15
	s_cselect_b64 s[60:61], -1, 0
	s_xor_b64 s[62:63], s[2:3], -1
	s_and_b64 s[60:61], s[62:63], s[60:61]
	s_and_b64 exec, exec, s[60:61]
	s_cbranch_execz .LBB3_101
; %bb.111:                              ;   in Loop: Header=BB3_102 Depth=2
	s_lshl_b64 s[60:61], s[48:49], 2
	s_and_b32 s60, s60, -8
	v_lshl_add_u64 v[16:17], v[14:15], 0, s[60:61]
	global_load_dwordx2 v[16:17], v[16:17], off
	v_mov_b32_e32 v9, s33
	ds_read_b64 v[18:19], v9 offset:8
	ds_read_b64 v[20:21], v2
	s_waitcnt vmcnt(0) lgkmcnt(0)
	v_fma_f64 v[16:17], -v[16:17], v[18:19], v[20:21]
	ds_write_b64 v2, v[16:17]
	s_branch .LBB3_101
.LBB3_112:                              ;   in Loop: Header=BB3_98 Depth=1
	s_add_u32 s2, s44, 0x200
	s_addc_u32 s3, s45, 0
	s_cmp_ge_i32 s2, s15
	s_cselect_b64 s[4:5], -1, 0
	s_and_b64 vcc, exec, s[4:5]
	s_waitcnt lgkmcnt(0)
	s_barrier
	s_cbranch_vccnz .LBB3_131
; %bb.113:                              ;   in Loop: Header=BB3_98 Depth=1
	v_ashrrev_i32_e32 v9, 31, v8
	v_lshl_add_u64 v[10:11], s[40:41], 0, v[8:9]
	v_lshlrev_b64 v[12:13], 3, v[10:11]
	s_mov_b32 s33, s2
	v_lshl_add_u64 v[10:11], s[26:27], 0, v[12:13]
	v_lshl_add_u64 v[12:13], s[18:19], 0, v[12:13]
	s_mov_b64 s[46:47], 0
	v_mov_b64_e32 v[14:15], v[0:1]
                                        ; implicit-def: $sgpr48_sgpr49
	s_branch .LBB3_116
.LBB3_114:                              ;   in Loop: Header=BB3_116 Depth=2
	v_mad_u64_u32 v[18:19], s[52:53], s6, v9, 0
	v_mov_b32_e32 v20, v19
	v_mad_u64_u32 v[20:21], s[52:53], s7, v9, v[20:21]
	v_mov_b32_e32 v19, v20
	v_lshl_add_u64 v[18:19], v[18:19], 3, s[12:13]
	global_load_dwordx2 v[20:21], v[18:19], off
	s_addk_i32 s33, 0x200
	s_cmp_ge_i32 s33, s15
	s_cselect_b64 s[52:53], -1, 0
	s_andn2_b64 s[48:49], s[48:49], exec
	s_and_b64 s[52:53], s[52:53], exec
	v_lshl_add_u64 v[10:11], v[10:11], 0, s[36:37]
	v_lshl_add_u64 v[12:13], v[12:13], 0, s[36:37]
	s_or_b64 s[48:49], s[48:49], s[52:53]
	s_waitcnt vmcnt(0)
	v_add_f64 v[16:17], v[20:21], -v[16:17]
	global_store_dwordx2 v[18:19], v[16:17], off
.LBB3_115:                              ;   in Loop: Header=BB3_116 Depth=2
	s_or_b64 exec, exec, s[50:51]
	s_and_b64 s[50:51], exec, s[48:49]
	s_or_b64 s[46:47], s[50:51], s[46:47]
	s_andn2_b64 exec, exec, s[46:47]
	s_cbranch_execz .LBB3_130
.LBB3_116:                              ;   Parent Loop BB3_98 Depth=1
                                        ; =>  This Loop Header: Depth=2
                                        ;       Child Loop BB3_118 Depth 3
	v_add_u32_e32 v9, s33, v0
	v_cmp_gt_i32_e32 vcc, s15, v9
	s_or_b64 s[48:49], s[48:49], exec
	s_and_saveexec_b64 s[50:51], vcc
	s_cbranch_execz .LBB3_115
; %bb.117:                              ;   in Loop: Header=BB3_116 Depth=2
	v_lshl_add_u64 v[18:19], v[14:15], 0, s[34:35]
	v_lshl_add_u64 v[14:15], v[14:15], 0, s[30:31]
	v_mov_b64_e32 v[16:17], 0
	s_mov_b64 s[52:53], 0
	s_mov_b32 s45, 0
	s_mov_b64 s[54:55], s[28:29]
	s_mov_b64 s[58:59], s[24:25]
	v_mov_b64_e32 v[20:21], v[12:13]
	s_mov_b64 s[56:57], s[22:23]
	s_mov_b64 s[60:61], s[20:21]
	v_mov_b64_e32 v[22:23], v[10:11]
.LBB3_118:                              ;   Parent Loop BB3_98 Depth=1
                                        ;     Parent Loop BB3_116 Depth=2
                                        ; =>    This Inner Loop Header: Depth=3
	v_cmp_ne_u32_e32 vcc, s52, v14
	s_xor_b64 s[62:63], s[8:9], -1
	s_add_u32 s66, s44, s52
	s_or_b64 s[64:65], s[62:63], vcc
	s_and_saveexec_b64 s[68:69], s[64:65]
	s_xor_b64 s[64:65], exec, s[68:69]
	s_cbranch_execz .LBB3_121
; %bb.119:                              ;   in Loop: Header=BB3_118 Depth=3
	s_cmp_ge_i32 s66, s15
	s_cbranch_scc1 .LBB3_121
; %bb.120:                              ;   in Loop: Header=BB3_118 Depth=3
	s_lshl_b64 s[68:69], s[54:55], 2
	s_and_b32 s68, s68, -8
	v_lshl_add_u64 v[24:25], v[20:21], 0, s[68:69]
	global_load_dwordx2 v[24:25], v[24:25], off
	v_mov_b32_e32 v19, s45
	ds_read_b64 v[26:27], v19
	s_waitcnt vmcnt(0) lgkmcnt(0)
	v_fmac_f64_e32 v[16:17], v[24:25], v[26:27]
.LBB3_121:                              ;   in Loop: Header=BB3_118 Depth=3
	s_andn2_saveexec_b64 s[64:65], s[64:65]
	s_cbranch_execz .LBB3_123
; %bb.122:                              ;   in Loop: Header=BB3_118 Depth=3
	v_mov_b32_e32 v19, s45
	ds_read_b64 v[24:25], v19
	s_waitcnt lgkmcnt(0)
	v_add_f64 v[16:17], v[16:17], v[24:25]
.LBB3_123:                              ;   in Loop: Header=BB3_118 Depth=3
	s_or_b64 exec, exec, s[64:65]
	v_cmp_ne_u32_e32 vcc, s52, v18
	s_or_b64 s[62:63], s[62:63], vcc
	s_and_saveexec_b64 s[64:65], s[62:63]
	s_xor_b64 s[62:63], exec, s[64:65]
	s_cbranch_execz .LBB3_126
; %bb.124:                              ;   in Loop: Header=BB3_118 Depth=3
	s_add_i32 s66, s66, 1
	s_cmp_ge_i32 s66, s15
	s_cbranch_scc1 .LBB3_126
; %bb.125:                              ;   in Loop: Header=BB3_118 Depth=3
	s_lshl_b64 s[64:65], s[56:57], 2
	s_and_b32 s64, s64, -8
	v_lshl_add_u64 v[24:25], v[22:23], 0, s[64:65]
	global_load_dwordx2 v[24:25], v[24:25], off
	v_mov_b32_e32 v19, s45
	ds_read_b64 v[26:27], v19 offset:8
	s_waitcnt vmcnt(0) lgkmcnt(0)
	v_fmac_f64_e32 v[16:17], v[24:25], v[26:27]
.LBB3_126:                              ;   in Loop: Header=BB3_118 Depth=3
	s_andn2_saveexec_b64 s[62:63], s[62:63]
	s_cbranch_execz .LBB3_128
; %bb.127:                              ;   in Loop: Header=BB3_118 Depth=3
	v_mov_b32_e32 v19, s45
	ds_read_b64 v[24:25], v19 offset:8
	s_waitcnt lgkmcnt(0)
	v_add_f64 v[16:17], v[16:17], v[24:25]
.LBB3_128:                              ;   in Loop: Header=BB3_118 Depth=3
	s_or_b64 exec, exec, s[62:63]
	s_add_u32 s52, s52, 2
	s_addc_u32 s53, s53, 0
	s_add_i32 s45, s45, 16
	s_add_u32 s62, s60, -8
	s_addc_u32 s63, s61, -1
	s_add_u32 s56, s56, s60
	s_addc_u32 s57, s57, s61
	s_add_u32 s60, s58, -8
	s_addc_u32 s61, s59, -1
	s_add_u32 s54, s54, s58
	s_addc_u32 s55, s55, s59
	v_lshl_add_u64 v[22:23], v[22:23], 0, -16
	s_cmpk_eq_i32 s52, 0x200
	v_lshl_add_u64 v[20:21], v[20:21], 0, -16
	s_cbranch_scc1 .LBB3_114
; %bb.129:                              ;   in Loop: Header=BB3_118 Depth=3
	s_mov_b64 s[58:59], s[60:61]
	s_mov_b64 s[60:61], s[62:63]
	s_branch .LBB3_118
.LBB3_130:                              ;   in Loop: Header=BB3_98 Depth=1
	s_or_b64 exec, exec, s[46:47]
.LBB3_131:                              ;   in Loop: Header=BB3_98 Depth=1
	s_and_saveexec_b64 s[44:45], s[0:1]
	s_cbranch_execz .LBB3_97
; %bb.132:                              ;   in Loop: Header=BB3_98 Depth=1
	ds_read_b64 v[10:11], v2
	v_mad_u64_u32 v[12:13], s[0:1], s6, v3, 0
	v_mov_b32_e32 v14, v13
	v_mad_u64_u32 v[14:15], s[0:1], s7, v3, v[14:15]
	v_mov_b32_e32 v13, v14
	v_lshl_add_u64 v[12:13], v[12:13], 3, s[12:13]
	s_waitcnt lgkmcnt(0)
	global_store_dwordx2 v[12:13], v[10:11], off
	s_branch .LBB3_97
.LBB3_133:
	s_mov_b64 s[0:1], 0
.LBB3_134:
	s_andn2_b64 vcc, exec, s[0:1]
	s_cbranch_vccnz .LBB3_180
; %bb.135:
	s_andn2_b64 vcc, exec, s[16:17]
	s_cbranch_vccnz .LBB3_180
; %bb.136:
	v_mov_b32_e32 v1, 0x1000
	v_mov_b32_e32 v3, 0
	s_movk_i32 s26, 0xfe00
	s_add_i32 s45, s15, 0xfffffe00
	v_lshl_or_b32 v32, v0, 3, v1
	v_add_u32_e32 v33, 0xfffffe01, v0
	s_mov_b32 s33, 0
	s_mov_b32 s44, s15
	v_mov_b32_e32 v1, v3
	s_mov_b64 s[4:5], 0xfffffdfd
	s_mov_b64 s[14:15], 0xfffffdfe
	;; [unrolled: 1-line block ×4, first 2 shown]
	s_xor_b64 s[20:21], s[8:9], -1
	s_mov_b64 s[22:23], 0xfffffe02
	s_mov_b64 s[24:25], 0xfffffe03
	s_mov_b32 s27, -1
	s_branch .LBB3_138
.LBB3_137:                              ;   in Loop: Header=BB3_138 Depth=1
	s_or_b64 exec, exec, s[28:29]
	s_add_u32 s44, s44, 0xfffffe00
	s_addc_u32 s33, s33, -1
	s_and_b64 vcc, exec, s[2:3]
	s_mov_b32 s45, s46
	s_barrier
	s_cbranch_vccnz .LBB3_180
.LBB3_138:                              ; =>This Loop Header: Depth=1
                                        ;     Child Loop BB3_143 Depth 2
                                        ;     Child Loop BB3_158 Depth 2
                                        ;       Child Loop BB3_161 Depth 3
	v_add_u32_e32 v4, s45, v0
	v_cmp_gt_i32_e32 vcc, 0, v4
	v_cmp_lt_i32_e64 s[0:1], -1, v4
	v_mov_b32_e32 v5, v3
	s_and_saveexec_b64 s[2:3], s[0:1]
	s_cbranch_execz .LBB3_140
; %bb.139:                              ;   in Loop: Header=BB3_138 Depth=1
	v_mad_u64_u32 v[6:7], s[28:29], s6, v4, 0
	v_mov_b32_e32 v2, v7
	v_mad_u64_u32 v[8:9], s[28:29], s7, v4, v[2:3]
	v_mov_b32_e32 v7, v8
	v_lshl_add_u64 v[6:7], v[6:7], 3, s[12:13]
	global_load_dwordx2 v[6:7], v[6:7], off
	s_waitcnt vmcnt(0)
	ds_write_b64 v32, v[6:7]
.LBB3_140:                              ;   in Loop: Header=BB3_138 Depth=1
	s_or_b64 exec, exec, s[2:3]
	v_add_u32_e32 v2, 1, v4
	v_mad_u64_u32 v[8:9], s[2:3], v4, v2, 0
	v_lshlrev_b64 v[8:9], 2, v[8:9]
	v_ashrrev_i32_e32 v7, 31, v4
	v_mov_b32_e32 v6, v4
	v_lshl_add_u64 v[10:11], v[4:5], 3, s[10:11]
	v_and_b32_e32 v8, -8, v8
	s_or_b64 s[2:3], s[8:9], vcc
	v_lshl_add_u64 v[6:7], v[6:7], 3, s[10:11]
	v_lshl_add_u64 v[8:9], v[10:11], 0, v[8:9]
	s_movk_i32 s34, 0x1ff
	s_movk_i32 s35, 0x1ff0
	v_mov_b32_e32 v5, s44
	s_xor_b64 s[28:29], s[2:3], -1
	v_mov_b32_e32 v2, v33
	s_waitcnt lgkmcnt(0)
	s_barrier
	s_branch .LBB3_143
.LBB3_141:                              ;   in Loop: Header=BB3_143 Depth=2
	s_or_b64 exec, exec, s[30:31]
	v_mov_b32_e32 v5, v11
.LBB3_142:                              ;   in Loop: Header=BB3_143 Depth=2
	s_or_b64 exec, exec, s[2:3]
	s_add_i32 s34, s34, -2
	s_add_i32 s35, s35, -16
	s_cmp_eq_u32 s36, 0
	v_add_u32_e32 v2, 2, v2
	s_cbranch_scc1 .LBB3_154
.LBB3_143:                              ;   Parent Loop BB3_138 Depth=1
                                        ; =>  This Inner Loop Header: Depth=2
	v_cmp_eq_u32_e32 vcc, 0, v2
	s_and_b64 s[30:31], vcc, s[28:29]
	s_and_saveexec_b64 s[2:3], s[30:31]
	s_cbranch_execz .LBB3_145
; %bb.144:                              ;   in Loop: Header=BB3_143 Depth=2
	global_load_dwordx2 v[10:11], v[8:9], off
	ds_read_b64 v[12:13], v32
	s_waitcnt vmcnt(0) lgkmcnt(0)
	v_div_scale_f64 v[14:15], s[30:31], v[10:11], v[10:11], v[12:13]
	v_rcp_f64_e32 v[16:17], v[14:15]
	v_div_scale_f64 v[18:19], vcc, v[12:13], v[10:11], v[12:13]
	v_fma_f64 v[20:21], -v[14:15], v[16:17], 1.0
	v_fmac_f64_e32 v[16:17], v[16:17], v[20:21]
	v_fma_f64 v[20:21], -v[14:15], v[16:17], 1.0
	v_fmac_f64_e32 v[16:17], v[16:17], v[20:21]
	v_mul_f64 v[20:21], v[18:19], v[16:17]
	v_fma_f64 v[14:15], -v[14:15], v[20:21], v[18:19]
	v_div_fmas_f64 v[14:15], v[14:15], v[16:17], v[20:21]
	v_div_fixup_f64 v[10:11], v[14:15], v[10:11], v[12:13]
	ds_write_b64 v32, v[10:11]
.LBB3_145:                              ;   in Loop: Header=BB3_143 Depth=2
	s_or_b64 exec, exec, s[2:3]
	v_add_u32_e32 v10, -1, v5
	v_or_b32_e32 v11, v4, v10
	v_cmp_gt_u32_e32 vcc, s34, v0
	v_cmp_lt_i32_e64 s[2:3], -1, v11
	s_and_b64 s[30:31], vcc, s[2:3]
	s_waitcnt lgkmcnt(0)
	s_barrier
	s_and_saveexec_b64 s[2:3], s[30:31]
	s_cbranch_execz .LBB3_147
; %bb.146:                              ;   in Loop: Header=BB3_143 Depth=2
	v_mad_u64_u32 v[12:13], s[30:31], v5, v10, 0
	v_lshlrev_b64 v[12:13], 2, v[12:13]
	v_and_b32_e32 v12, -8, v12
	v_lshl_add_u64 v[12:13], v[6:7], 0, v[12:13]
	global_load_dwordx2 v[12:13], v[12:13], off
	v_mov_b32_e32 v11, s35
	ds_read_b64 v[14:15], v11 offset:8
	ds_read_b64 v[16:17], v32
	s_waitcnt vmcnt(0) lgkmcnt(0)
	v_fma_f64 v[12:13], -v[12:13], v[14:15], v[16:17]
	ds_write_b64 v32, v[12:13]
.LBB3_147:                              ;   in Loop: Header=BB3_143 Depth=2
	s_or_b64 exec, exec, s[2:3]
	s_add_i32 s36, s34, -1
	v_cmp_eq_u32_e32 vcc, s36, v0
	s_and_b64 s[30:31], vcc, s[28:29]
	s_and_saveexec_b64 s[2:3], s[30:31]
	s_cbranch_execz .LBB3_149
; %bb.148:                              ;   in Loop: Header=BB3_143 Depth=2
	global_load_dwordx2 v[12:13], v[8:9], off
	ds_read_b64 v[14:15], v32
	s_waitcnt vmcnt(0) lgkmcnt(0)
	v_div_scale_f64 v[16:17], s[30:31], v[12:13], v[12:13], v[14:15]
	v_rcp_f64_e32 v[18:19], v[16:17]
	v_div_scale_f64 v[20:21], vcc, v[14:15], v[12:13], v[14:15]
	v_fma_f64 v[22:23], -v[16:17], v[18:19], 1.0
	v_fmac_f64_e32 v[18:19], v[18:19], v[22:23]
	v_fma_f64 v[22:23], -v[16:17], v[18:19], 1.0
	v_fmac_f64_e32 v[18:19], v[18:19], v[22:23]
	v_mul_f64 v[22:23], v[20:21], v[18:19]
	v_fma_f64 v[16:17], -v[16:17], v[22:23], v[20:21]
	v_div_fmas_f64 v[16:17], v[16:17], v[18:19], v[22:23]
	v_div_fixup_f64 v[12:13], v[16:17], v[12:13], v[14:15]
	ds_write_b64 v32, v[12:13]
.LBB3_149:                              ;   in Loop: Header=BB3_143 Depth=2
	s_or_b64 exec, exec, s[2:3]
	v_cmp_le_u32_e32 vcc, s36, v0
	v_add_u32_e32 v11, -2, v5
	s_waitcnt lgkmcnt(0)
	s_barrier
	s_and_saveexec_b64 s[2:3], vcc
	s_xor_b64 s[2:3], exec, s[2:3]
; %bb.150:                              ;   in Loop: Header=BB3_143 Depth=2
	v_add_u32_e32 v5, -2, v5
                                        ; implicit-def: $vgpr11
                                        ; implicit-def: $vgpr10
; %bb.151:                              ;   in Loop: Header=BB3_143 Depth=2
	s_andn2_saveexec_b64 s[2:3], s[2:3]
	s_cbranch_execz .LBB3_142
; %bb.152:                              ;   in Loop: Header=BB3_143 Depth=2
	v_or_b32_e32 v5, v4, v11
	v_cmp_lt_i32_e32 vcc, -1, v5
	s_and_saveexec_b64 s[30:31], vcc
	s_cbranch_execz .LBB3_141
; %bb.153:                              ;   in Loop: Header=BB3_143 Depth=2
	v_mad_u64_u32 v[12:13], s[38:39], v10, v11, 0
	v_lshlrev_b64 v[12:13], 2, v[12:13]
	v_and_b32_e32 v12, -8, v12
	v_lshl_add_u64 v[12:13], v[6:7], 0, v[12:13]
	global_load_dwordx2 v[12:13], v[12:13], off
	v_mov_b32_e32 v5, s35
	ds_read_b64 v[14:15], v5
	ds_read_b64 v[16:17], v32
	s_waitcnt vmcnt(0) lgkmcnt(0)
	v_fma_f64 v[12:13], -v[12:13], v[14:15], v[16:17]
	ds_write_b64 v32, v[12:13]
	s_branch .LBB3_141
.LBB3_154:                              ;   in Loop: Header=BB3_138 Depth=1
	s_add_i32 s46, s45, 0xfffffe00
	s_cmp_lt_i32 s45, 1
	s_cselect_b64 s[2:3], -1, 0
	s_and_b64 vcc, exec, s[2:3]
	s_waitcnt lgkmcnt(0)
	s_barrier
	s_cbranch_vccnz .LBB3_178
; %bb.155:                              ;   in Loop: Header=BB3_138 Depth=1
	s_mov_b64 s[28:29], 0
	v_mov_b64_e32 v[6:7], v[0:1]
	s_mov_b32 s47, s46
                                        ; implicit-def: $sgpr30_sgpr31
	s_branch .LBB3_158
.LBB3_156:                              ;   in Loop: Header=BB3_158 Depth=2
	v_mad_u64_u32 v[10:11], s[36:37], s6, v2, 0
	v_mov_b32_e32 v12, v11
	v_mad_u64_u32 v[12:13], s[36:37], s7, v2, v[12:13]
	v_mov_b32_e32 v11, v12
	v_lshl_add_u64 v[10:11], v[10:11], 3, s[12:13]
	global_load_dwordx2 v[12:13], v[10:11], off
	s_add_i32 s38, s47, 0xfffffe00
	s_cmp_lt_i32 s47, 1
	s_cselect_b64 s[36:37], -1, 0
	s_andn2_b64 s[30:31], s[30:31], exec
	s_and_b64 s[36:37], s[36:37], exec
	v_lshl_add_u64 v[6:7], v[6:7], 0, s[26:27]
	s_or_b64 s[30:31], s[30:31], s[36:37]
	s_mov_b32 s47, s38
	s_waitcnt vmcnt(0)
	v_add_f64 v[8:9], v[12:13], -v[8:9]
	global_store_dwordx2 v[10:11], v[8:9], off
.LBB3_157:                              ;   in Loop: Header=BB3_158 Depth=2
	s_or_b64 exec, exec, s[34:35]
	s_and_b64 s[34:35], exec, s[30:31]
	s_or_b64 s[28:29], s[34:35], s[28:29]
	s_andn2_b64 exec, exec, s[28:29]
	s_cbranch_execz .LBB3_177
.LBB3_158:                              ;   Parent Loop BB3_138 Depth=1
                                        ; =>  This Loop Header: Depth=2
                                        ;       Child Loop BB3_161 Depth 3
	v_add_u32_e32 v2, s47, v0
	v_cmp_lt_i32_e32 vcc, -1, v2
	s_or_b64 s[30:31], s[30:31], exec
	s_and_saveexec_b64 s[34:35], vcc
	s_cbranch_execz .LBB3_157
; %bb.159:                              ;   in Loop: Header=BB3_158 Depth=2
	v_lshl_add_u64 v[10:11], v[2:3], 3, s[10:11]
	v_lshl_add_u64 v[12:13], v[6:7], 0, s[4:5]
	;; [unrolled: 1-line block ×5, first 2 shown]
	v_mov_b64_e32 v[8:9], 0
	s_movk_i32 s48, 0x1000
	s_mov_b64 s[36:37], 0
	s_branch .LBB3_161
.LBB3_160:                              ;   in Loop: Header=BB3_161 Depth=3
	s_or_b64 exec, exec, s[38:39]
	s_waitcnt lgkmcnt(0)
	v_add_f64 v[8:9], v[8:9], v[20:21]
	s_add_i32 s48, s48, 32
	v_add_f64 v[8:9], v[8:9], v[24:25]
	s_add_u32 s36, s36, 4
	v_add_f64 v[8:9], v[8:9], v[26:27]
	s_addc_u32 s37, s37, 0
	s_cmpk_eq_i32 s36, 0x200
	v_add_f64 v[8:9], v[8:9], v[28:29]
	s_cbranch_scc1 .LBB3_156
.LBB3_161:                              ;   Parent Loop BB3_138 Depth=1
                                        ;     Parent Loop BB3_158 Depth=2
                                        ; =>    This Inner Loop Header: Depth=3
	v_cmp_ne_u32_e32 vcc, s36, v18
	s_or_b64 s[42:43], s[20:21], vcc
                                        ; implicit-def: $vgpr20_vgpr21
                                        ; implicit-def: $sgpr38_sgpr39
                                        ; implicit-def: $sgpr40_sgpr41
	s_and_saveexec_b64 s[50:51], s[42:43]
	s_xor_b64 s[42:43], exec, s[50:51]
	s_cbranch_execz .LBB3_163
; %bb.162:                              ;   in Loop: Header=BB3_161 Depth=3
	s_add_u32 s38, s44, s36
	s_addc_u32 s39, s33, s37
	s_add_u32 s40, s38, 0xfffffe01
	s_addc_u32 s41, s39, 0
	;; [unrolled: 2-line block ×3, first 2 shown]
	s_mul_i32 s50, s40, s50
	s_mul_hi_u32 s51, s40, s49
	s_add_i32 s51, s51, s50
	s_mul_i32 s50, s40, s49
	s_lshl_b64 s[50:51], s[50:51], 2
	s_and_b32 s50, s50, -8
	v_lshl_add_u64 v[20:21], v[10:11], 0, s[50:51]
	global_load_dwordx2 v[20:21], v[20:21], off
	v_mov_b32_e32 v5, s48
	ds_read_b64 v[22:23], v5
	s_waitcnt vmcnt(0) lgkmcnt(0)
	v_mul_f64 v[20:21], v[20:21], v[22:23]
.LBB3_163:                              ;   in Loop: Header=BB3_161 Depth=3
	s_or_saveexec_b64 s[42:43], s[42:43]
	v_mov_b64_e32 v[26:27], s[40:41]
	v_mov_b64_e32 v[22:23], s[38:39]
	s_xor_b64 exec, exec, s[42:43]
	s_cbranch_execz .LBB3_165
; %bb.164:                              ;   in Loop: Header=BB3_161 Depth=3
	v_mov_b32_e32 v5, s48
	ds_read_b64 v[20:21], v5
	s_add_u32 s38, s44, s36
	s_addc_u32 s39, s33, s37
	s_add_u32 s40, s38, 0xfffffe01
	s_addc_u32 s41, s39, 0
	v_mov_b64_e32 v[26:27], s[40:41]
	v_mov_b64_e32 v[22:23], s[38:39]
.LBB3_165:                              ;   in Loop: Header=BB3_161 Depth=3
	s_or_b64 exec, exec, s[42:43]
	v_cmp_ne_u32_e32 vcc, s36, v16
	s_or_b64 s[38:39], s[20:21], vcc
	v_lshl_add_u64 v[28:29], v[22:23], 0, s[22:23]
                                        ; implicit-def: $vgpr24_vgpr25
	s_and_saveexec_b64 s[40:41], s[38:39]
	s_xor_b64 s[38:39], exec, s[40:41]
	s_cbranch_execz .LBB3_167
; %bb.166:                              ;   in Loop: Header=BB3_161 Depth=3
	v_lshl_add_u64 v[28:29], v[22:23], 0, s[22:23]
	v_mad_u64_u32 v[24:25], s[40:41], v28, v26, 0
	v_lshlrev_b64 v[24:25], 2, v[24:25]
	v_and_b32_e32 v24, -8, v24
	v_lshl_add_u64 v[24:25], v[10:11], 0, v[24:25]
	global_load_dwordx2 v[24:25], v[24:25], off
	v_mov_b32_e32 v5, s48
	ds_read_b64 v[26:27], v5 offset:8
	s_waitcnt vmcnt(0) lgkmcnt(0)
	v_mul_f64 v[24:25], v[24:25], v[26:27]
.LBB3_167:                              ;   in Loop: Header=BB3_161 Depth=3
	s_andn2_saveexec_b64 s[38:39], s[38:39]
; %bb.168:                              ;   in Loop: Header=BB3_161 Depth=3
	v_mov_b32_e32 v5, s48
	ds_read_b64 v[24:25], v5 offset:8
; %bb.169:                              ;   in Loop: Header=BB3_161 Depth=3
	s_or_b64 exec, exec, s[38:39]
	v_cmp_ne_u32_e32 vcc, s36, v14
	s_or_b64 s[38:39], s[20:21], vcc
	v_lshl_add_u64 v[30:31], v[22:23], 0, s[24:25]
                                        ; implicit-def: $vgpr26_vgpr27
	s_and_saveexec_b64 s[40:41], s[38:39]
	s_xor_b64 s[38:39], exec, s[40:41]
	s_cbranch_execz .LBB3_171
; %bb.170:                              ;   in Loop: Header=BB3_161 Depth=3
	v_lshl_add_u64 v[30:31], v[22:23], 0, s[24:25]
	v_mad_u64_u32 v[26:27], s[40:41], v30, v28, 0
	v_lshlrev_b64 v[26:27], 2, v[26:27]
	v_and_b32_e32 v26, -8, v26
	v_lshl_add_u64 v[26:27], v[10:11], 0, v[26:27]
	global_load_dwordx2 v[26:27], v[26:27], off
	v_mov_b32_e32 v5, s48
	ds_read_b64 v[28:29], v5 offset:16
	s_waitcnt vmcnt(0) lgkmcnt(0)
	v_mul_f64 v[26:27], v[26:27], v[28:29]
.LBB3_171:                              ;   in Loop: Header=BB3_161 Depth=3
	s_andn2_saveexec_b64 s[38:39], s[38:39]
; %bb.172:                              ;   in Loop: Header=BB3_161 Depth=3
	v_mov_b32_e32 v5, s48
	ds_read_b64 v[26:27], v5 offset:16
; %bb.173:                              ;   in Loop: Header=BB3_161 Depth=3
	s_or_b64 exec, exec, s[38:39]
	v_cmp_ne_u32_e32 vcc, s36, v12
	s_or_b64 s[38:39], s[20:21], vcc
                                        ; implicit-def: $vgpr28_vgpr29
	s_and_saveexec_b64 s[40:41], s[38:39]
	s_xor_b64 s[38:39], exec, s[40:41]
	s_cbranch_execz .LBB3_175
; %bb.174:                              ;   in Loop: Header=BB3_161 Depth=3
	v_add_u32_e32 v5, 0xfffffe04, v22
	v_mad_u64_u32 v[22:23], s[40:41], v5, v30, 0
	v_lshlrev_b64 v[22:23], 2, v[22:23]
	v_and_b32_e32 v22, -8, v22
	v_lshl_add_u64 v[22:23], v[10:11], 0, v[22:23]
	global_load_dwordx2 v[22:23], v[22:23], off
	v_mov_b32_e32 v5, s48
	ds_read_b64 v[28:29], v5 offset:24
	s_waitcnt vmcnt(0) lgkmcnt(0)
	v_mul_f64 v[28:29], v[22:23], v[28:29]
.LBB3_175:                              ;   in Loop: Header=BB3_161 Depth=3
	s_andn2_saveexec_b64 s[38:39], s[38:39]
	s_cbranch_execz .LBB3_160
; %bb.176:                              ;   in Loop: Header=BB3_161 Depth=3
	v_mov_b32_e32 v5, s48
	ds_read_b64 v[28:29], v5 offset:24
	s_branch .LBB3_160
.LBB3_177:                              ;   in Loop: Header=BB3_138 Depth=1
	s_or_b64 exec, exec, s[28:29]
.LBB3_178:                              ;   in Loop: Header=BB3_138 Depth=1
	s_and_saveexec_b64 s[28:29], s[0:1]
	s_cbranch_execz .LBB3_137
; %bb.179:                              ;   in Loop: Header=BB3_138 Depth=1
	ds_read_b64 v[6:7], v32
	v_mad_u64_u32 v[8:9], s[0:1], s6, v4, 0
	v_mov_b32_e32 v2, v9
	v_mad_u64_u32 v[4:5], s[0:1], s7, v4, v[2:3]
	v_mov_b32_e32 v9, v4
	v_lshl_add_u64 v[4:5], v[8:9], 3, s[12:13]
	s_waitcnt lgkmcnt(0)
	global_store_dwordx2 v[4:5], v[6:7], off
	s_branch .LBB3_137
.LBB3_180:
	s_endpgm
	.section	.rodata,"a",@progbits
	.p2align	6, 0x0
	.amdhsa_kernel _ZL19rocblas_tpsv_kernelILb0ELi512EPKdPdEv18rocblas_operation_bbiT1_llT2_lll
		.amdhsa_group_segment_fixed_size 8192
		.amdhsa_private_segment_fixed_size 0
		.amdhsa_kernarg_size 72
		.amdhsa_user_sgpr_count 2
		.amdhsa_user_sgpr_dispatch_ptr 0
		.amdhsa_user_sgpr_queue_ptr 0
		.amdhsa_user_sgpr_kernarg_segment_ptr 1
		.amdhsa_user_sgpr_dispatch_id 0
		.amdhsa_user_sgpr_kernarg_preload_length 0
		.amdhsa_user_sgpr_kernarg_preload_offset 0
		.amdhsa_user_sgpr_private_segment_size 0
		.amdhsa_uses_dynamic_stack 0
		.amdhsa_enable_private_segment 0
		.amdhsa_system_sgpr_workgroup_id_x 1
		.amdhsa_system_sgpr_workgroup_id_y 0
		.amdhsa_system_sgpr_workgroup_id_z 0
		.amdhsa_system_sgpr_workgroup_info 0
		.amdhsa_system_vgpr_workitem_id 0
		.amdhsa_next_free_vgpr 34
		.amdhsa_next_free_sgpr 70
		.amdhsa_accum_offset 36
		.amdhsa_reserve_vcc 1
		.amdhsa_float_round_mode_32 0
		.amdhsa_float_round_mode_16_64 0
		.amdhsa_float_denorm_mode_32 3
		.amdhsa_float_denorm_mode_16_64 3
		.amdhsa_dx10_clamp 1
		.amdhsa_ieee_mode 1
		.amdhsa_fp16_overflow 0
		.amdhsa_tg_split 0
		.amdhsa_exception_fp_ieee_invalid_op 0
		.amdhsa_exception_fp_denorm_src 0
		.amdhsa_exception_fp_ieee_div_zero 0
		.amdhsa_exception_fp_ieee_overflow 0
		.amdhsa_exception_fp_ieee_underflow 0
		.amdhsa_exception_fp_ieee_inexact 0
		.amdhsa_exception_int_div_zero 0
	.end_amdhsa_kernel
	.section	.text._ZL19rocblas_tpsv_kernelILb0ELi512EPKdPdEv18rocblas_operation_bbiT1_llT2_lll,"axG",@progbits,_ZL19rocblas_tpsv_kernelILb0ELi512EPKdPdEv18rocblas_operation_bbiT1_llT2_lll,comdat
.Lfunc_end3:
	.size	_ZL19rocblas_tpsv_kernelILb0ELi512EPKdPdEv18rocblas_operation_bbiT1_llT2_lll, .Lfunc_end3-_ZL19rocblas_tpsv_kernelILb0ELi512EPKdPdEv18rocblas_operation_bbiT1_llT2_lll
                                        ; -- End function
	.set _ZL19rocblas_tpsv_kernelILb0ELi512EPKdPdEv18rocblas_operation_bbiT1_llT2_lll.num_vgpr, 34
	.set _ZL19rocblas_tpsv_kernelILb0ELi512EPKdPdEv18rocblas_operation_bbiT1_llT2_lll.num_agpr, 0
	.set _ZL19rocblas_tpsv_kernelILb0ELi512EPKdPdEv18rocblas_operation_bbiT1_llT2_lll.numbered_sgpr, 70
	.set _ZL19rocblas_tpsv_kernelILb0ELi512EPKdPdEv18rocblas_operation_bbiT1_llT2_lll.num_named_barrier, 0
	.set _ZL19rocblas_tpsv_kernelILb0ELi512EPKdPdEv18rocblas_operation_bbiT1_llT2_lll.private_seg_size, 0
	.set _ZL19rocblas_tpsv_kernelILb0ELi512EPKdPdEv18rocblas_operation_bbiT1_llT2_lll.uses_vcc, 1
	.set _ZL19rocblas_tpsv_kernelILb0ELi512EPKdPdEv18rocblas_operation_bbiT1_llT2_lll.uses_flat_scratch, 0
	.set _ZL19rocblas_tpsv_kernelILb0ELi512EPKdPdEv18rocblas_operation_bbiT1_llT2_lll.has_dyn_sized_stack, 0
	.set _ZL19rocblas_tpsv_kernelILb0ELi512EPKdPdEv18rocblas_operation_bbiT1_llT2_lll.has_recursion, 0
	.set _ZL19rocblas_tpsv_kernelILb0ELi512EPKdPdEv18rocblas_operation_bbiT1_llT2_lll.has_indirect_call, 0
	.section	.AMDGPU.csdata,"",@progbits
; Kernel info:
; codeLenInByte = 6880
; TotalNumSgprs: 76
; NumVgprs: 34
; NumAgprs: 0
; TotalNumVgprs: 34
; ScratchSize: 0
; MemoryBound: 0
; FloatMode: 240
; IeeeMode: 1
; LDSByteSize: 8192 bytes/workgroup (compile time only)
; SGPRBlocks: 9
; VGPRBlocks: 4
; NumSGPRsForWavesPerEU: 76
; NumVGPRsForWavesPerEU: 34
; AccumOffset: 36
; Occupancy: 8
; WaveLimiterHint : 0
; COMPUTE_PGM_RSRC2:SCRATCH_EN: 0
; COMPUTE_PGM_RSRC2:USER_SGPR: 2
; COMPUTE_PGM_RSRC2:TRAP_HANDLER: 0
; COMPUTE_PGM_RSRC2:TGID_X_EN: 1
; COMPUTE_PGM_RSRC2:TGID_Y_EN: 0
; COMPUTE_PGM_RSRC2:TGID_Z_EN: 0
; COMPUTE_PGM_RSRC2:TIDIG_COMP_CNT: 0
; COMPUTE_PGM_RSRC3_GFX90A:ACCUM_OFFSET: 8
; COMPUTE_PGM_RSRC3_GFX90A:TG_SPLIT: 0
	.section	.text._ZL19rocblas_tpsv_kernelILb1ELi512EPK19rocblas_complex_numIfEPS1_Ev18rocblas_operation_bbiT1_llT2_lll,"axG",@progbits,_ZL19rocblas_tpsv_kernelILb1ELi512EPK19rocblas_complex_numIfEPS1_Ev18rocblas_operation_bbiT1_llT2_lll,comdat
	.globl	_ZL19rocblas_tpsv_kernelILb1ELi512EPK19rocblas_complex_numIfEPS1_Ev18rocblas_operation_bbiT1_llT2_lll ; -- Begin function _ZL19rocblas_tpsv_kernelILb1ELi512EPK19rocblas_complex_numIfEPS1_Ev18rocblas_operation_bbiT1_llT2_lll
	.p2align	8
	.type	_ZL19rocblas_tpsv_kernelILb1ELi512EPK19rocblas_complex_numIfEPS1_Ev18rocblas_operation_bbiT1_llT2_lll,@function
_ZL19rocblas_tpsv_kernelILb1ELi512EPK19rocblas_complex_numIfEPS1_Ev18rocblas_operation_bbiT1_llT2_lll: ; @_ZL19rocblas_tpsv_kernelILb1ELi512EPK19rocblas_complex_numIfEPS1_Ev18rocblas_operation_bbiT1_llT2_lll
; %bb.0:
	s_load_dwordx2 s[28:29], s[0:1], 0x0
	s_load_dwordx2 s[12:13], s[0:1], 0x4
	;; [unrolled: 1-line block ×3, first 2 shown]
	s_load_dwordx4 s[24:27], s[0:1], 0x18
	s_load_dwordx2 s[14:15], s[0:1], 0x28
	s_waitcnt lgkmcnt(0)
	s_bitcmp1_b32 s29, 0
	s_cselect_b64 s[4:5], -1, 0
	s_xor_b64 s[20:21], s[4:5], -1
	s_bitcmp1_b32 s12, 8
	s_load_dwordx4 s[4:7], s[0:1], 0x30
	s_load_dwordx2 s[30:31], s[0:1], 0x40
	s_mul_i32 s0, s27, s2
	s_mul_hi_u32 s1, s26, s2
	s_cselect_b64 s[8:9], -1, 0
	s_add_i32 s1, s1, s0
	s_mul_i32 s0, s26, s2
	s_lshl_b64 s[18:19], s[0:1], 3
	s_add_u32 s0, s16, s18
	s_addc_u32 s1, s17, s19
	s_lshl_b64 s[22:23], s[24:25], 3
	s_add_u32 s10, s0, s22
	s_addc_u32 s11, s1, s23
	s_waitcnt lgkmcnt(0)
	s_mul_i32 s0, s31, s2
	s_mul_hi_u32 s1, s30, s2
	s_add_i32 s1, s1, s0
	s_mul_i32 s0, s30, s2
	s_lshl_b64 s[0:1], s[0:1], 3
	s_add_u32 s2, s14, s0
	s_addc_u32 s3, s15, s1
	s_lshl_b64 s[0:1], s[4:5], 3
	s_add_u32 s4, s2, s0
	s_addc_u32 s5, s3, s1
	s_cmp_gt_i32 s13, 0
	s_cselect_b64 s[14:15], -1, 0
	s_cmpk_lg_i32 s28, 0x6f
	s_mov_b64 s[0:1], -1
	s_cbranch_scc0 .LBB4_92
; %bb.1:
	s_and_b64 vcc, exec, s[20:21]
	s_cbranch_vccz .LBB4_44
; %bb.2:
	s_andn2_b64 vcc, exec, s[14:15]
	s_cbranch_vccnz .LBB4_43
; %bb.3:
	s_lshl_b32 s24, s13, 1
	s_add_i32 s40, s13, 0xfffffe00
	s_or_b32 s12, s24, 1
	s_add_u32 s2, s18, s22
	v_lshlrev_b32_e32 v2, 3, v0
	s_addc_u32 s3, s19, s23
	v_or_b32_e32 v1, 0x3000, v2
	v_mov_b32_e32 v3, s3
	v_sub_co_u32_e32 v2, vcc, s2, v2
	s_mov_b64 s[0:1], 0xff8
	s_nop 0
	v_subbrev_co_u32_e32 v3, vcc, 0, v3, vcc
	v_lshl_add_u64 v[2:3], s[16:17], 0, v[2:3]
	v_lshl_add_u64 v[2:3], v[2:3], 0, s[0:1]
	s_ashr_i32 s1, s13, 31
	s_mov_b32 s0, s13
	s_lshl_b64 s[0:1], s[0:1], 3
	s_add_u32 s0, s2, s0
	s_addc_u32 s1, s3, s1
	s_add_u32 s0, s16, s0
	v_sub_u32_e32 v4, s13, v0
	s_addc_u32 s1, s17, s1
	v_add_u32_e32 v20, 0x201, v4
	v_add_u32_e32 v4, s13, v0
	s_add_u32 s2, s0, 0xfffff000
	v_add_u32_e32 v21, 0xfffffe00, v4
	s_addc_u32 s3, s1, -1
	v_add_u32_e32 v22, 0xfffffc00, v4
	s_ashr_i32 s33, s24, 31
	s_movk_i32 s42, 0x400
	s_movk_i32 s43, 0x401
	;; [unrolled: 1-line block ×4, first 2 shown]
	s_mov_b64 s[24:25], 0x1000
	s_mov_b64 s[26:27], 0x200
	s_xor_b64 s[28:29], s[8:9], -1
	s_branch .LBB4_5
.LBB4_4:                                ;   in Loop: Header=BB4_5 Depth=1
	s_or_b64 exec, exec, s[34:35]
	s_add_u32 s2, s2, 0xfffff000
	v_add_u32_e32 v20, 0x200, v20
	v_add_u32_e32 v21, 0xfffffe00, v21
	s_addc_u32 s3, s3, -1
	v_add_u32_e32 v22, 0xfffffe00, v22
	s_andn2_b64 vcc, exec, s[30:31]
	s_mov_b32 s40, s46
	s_barrier
	s_cbranch_vccz .LBB4_43
.LBB4_5:                                ; =>This Loop Header: Depth=1
                                        ;     Child Loop BB4_9 Depth 2
                                        ;     Child Loop BB4_21 Depth 2
                                        ;       Child Loop BB4_24 Depth 3
	v_add_u32_e32 v23, s40, v0
	v_cmp_gt_i32_e32 vcc, 0, v23
	v_cmp_lt_i32_e64 s[0:1], -1, v23
	s_and_saveexec_b64 s[30:31], s[0:1]
	s_cbranch_execz .LBB4_7
; %bb.6:                                ;   in Loop: Header=BB4_5 Depth=1
	v_mad_u64_u32 v[4:5], s[34:35], s6, v23, 0
	v_mov_b32_e32 v6, v5
	v_mad_u64_u32 v[6:7], s[34:35], s7, v23, v[6:7]
	v_mov_b32_e32 v5, v6
	v_lshl_add_u64 v[4:5], v[4:5], 3, s[4:5]
	global_load_dwordx2 v[4:5], v[4:5], off
	s_waitcnt vmcnt(0)
	ds_write_b64 v1, v[4:5]
.LBB4_7:                                ;   in Loop: Header=BB4_5 Depth=1
	s_or_b64 exec, exec, s[30:31]
	v_mad_u64_u32 v[4:5], s[30:31], v20, v21, 0
	v_ashrrev_i32_e32 v7, 31, v20
	v_mov_b32_e32 v6, v5
	v_mad_u64_u32 v[6:7], s[30:31], v7, v21, v[6:7]
	v_mov_b32_e32 v5, v6
	s_not_b32 s30, s40
	v_sub_u32_e32 v6, s12, v23
	v_max_i32_e32 v14, s30, v0
	v_ashrrev_i32_e32 v9, 31, v6
	v_mad_u64_u32 v[6:7], s[30:31], v6, v23, 0
	v_mov_b32_e32 v8, v7
	v_mad_u64_u32 v[8:9], s[30:31], v9, v23, v[8:9]
	v_mov_b32_e32 v7, v8
	v_lshlrev_b64 v[4:5], 2, v[4:5]
	v_lshlrev_b64 v[6:7], 2, v[6:7]
	v_and_b32_e32 v4, -8, v4
	v_and_b32_e32 v6, -8, v6
	s_or_b64 s[30:31], vcc, s[8:9]
	v_lshl_add_u64 v[4:5], v[2:3], 0, v[4:5]
	v_lshl_add_u64 v[6:7], s[10:11], 0, v[6:7]
	s_movk_i32 s41, 0x1ff
	s_movk_i32 s46, 0x3ff8
	s_xor_b64 s[30:31], s[30:31], -1
	s_xor_b64 s[34:35], vcc, -1
	s_waitcnt lgkmcnt(0)
	s_barrier
	s_branch .LBB4_9
.LBB4_8:                                ;   in Loop: Header=BB4_9 Depth=2
	s_or_b64 exec, exec, s[36:37]
	s_add_i32 s41, s41, -1
	s_add_i32 s46, s46, -8
	s_cmp_eq_u32 s41, -1
	v_lshl_add_u64 v[4:5], v[4:5], 0, -8
	s_cbranch_scc1 .LBB4_17
.LBB4_9:                                ;   Parent Loop BB4_5 Depth=1
                                        ; =>  This Inner Loop Header: Depth=2
	v_cmp_eq_u32_e32 vcc, s41, v0
	s_and_b64 s[38:39], vcc, s[30:31]
	s_and_saveexec_b64 s[36:37], s[38:39]
	s_cbranch_execz .LBB4_15
; %bb.10:                               ;   in Loop: Header=BB4_9 Depth=2
	global_load_dwordx2 v[10:11], v[6:7], off
	ds_read_b64 v[8:9], v1
                                        ; implicit-def: $vgpr12_vgpr13
	s_waitcnt vmcnt(0)
	v_cmp_ngt_f32_e64 s[38:39], |v10|, |v11|
	s_and_saveexec_b64 s[48:49], s[38:39]
	s_xor_b64 s[38:39], exec, s[48:49]
	s_cbranch_execz .LBB4_12
; %bb.11:                               ;   in Loop: Header=BB4_9 Depth=2
	v_div_scale_f32 v12, s[48:49], -v11, -v11, v10
	v_rcp_f32_e32 v13, v12
	v_div_scale_f32 v15, vcc, v10, -v11, v10
	v_fma_f32 v16, -v12, v13, 1.0
	v_fmac_f32_e32 v13, v16, v13
	v_mul_f32_e32 v16, v15, v13
	v_fma_f32 v17, -v12, v16, v15
	v_fmac_f32_e32 v16, v17, v13
	v_fma_f32 v12, -v12, v16, v15
	v_div_fmas_f32 v12, v12, v13, v16
	v_div_fixup_f32 v12, v12, -v11, v10
	v_fma_f32 v10, v10, v12, -v11
	v_div_scale_f32 v11, s[48:49], v10, v10, 1.0
	v_rcp_f32_e32 v13, v11
	s_nop 0
	v_fma_f32 v15, -v11, v13, 1.0
	v_fmac_f32_e32 v13, v15, v13
	v_div_scale_f32 v15, vcc, 1.0, v10, 1.0
	v_mul_f32_e32 v16, v15, v13
	v_fma_f32 v17, -v11, v16, v15
	v_fmac_f32_e32 v16, v17, v13
	v_fma_f32 v11, -v11, v16, v15
	v_div_fmas_f32 v11, v11, v13, v16
	s_waitcnt lgkmcnt(0)
	v_pk_fma_f32 v[16:17], v[12:13], v[8:9], v[8:9] op_sel:[0,0,1] op_sel_hi:[1,1,0]
	v_pk_fma_f32 v[8:9], v[12:13], v[8:9], v[8:9] op_sel:[0,0,1] op_sel_hi:[0,1,0] neg_lo:[0,0,1] neg_hi:[0,0,1]
	v_div_fixup_f32 v10, v11, v10, 1.0
	v_mov_b32_e32 v17, v9
	v_pk_mul_f32 v[12:13], v[10:11], v[16:17] op_sel_hi:[0,1]
                                        ; implicit-def: $vgpr10_vgpr11
                                        ; implicit-def: $vgpr8_vgpr9
.LBB4_12:                               ;   in Loop: Header=BB4_9 Depth=2
	s_andn2_saveexec_b64 s[38:39], s[38:39]
	s_cbranch_execz .LBB4_14
; %bb.13:                               ;   in Loop: Header=BB4_9 Depth=2
	v_div_scale_f32 v12, s[48:49], v10, v10, -v11
	v_rcp_f32_e32 v13, v12
	v_div_scale_f32 v15, vcc, -v11, v10, -v11
	v_fma_f32 v16, -v12, v13, 1.0
	v_fmac_f32_e32 v13, v16, v13
	v_mul_f32_e32 v16, v15, v13
	v_fma_f32 v17, -v12, v16, v15
	v_fmac_f32_e32 v16, v17, v13
	v_fma_f32 v12, -v12, v16, v15
	v_div_fmas_f32 v12, v12, v13, v16
	v_div_fixup_f32 v12, v12, v10, -v11
	v_fma_f32 v10, -v11, v12, v10
	v_div_scale_f32 v11, s[48:49], v10, v10, 1.0
	v_rcp_f32_e32 v13, v11
	s_nop 0
	v_fma_f32 v15, -v11, v13, 1.0
	v_fmac_f32_e32 v13, v15, v13
	v_div_scale_f32 v15, vcc, 1.0, v10, 1.0
	v_mul_f32_e32 v16, v15, v13
	v_fma_f32 v17, -v11, v16, v15
	v_fmac_f32_e32 v16, v17, v13
	v_fma_f32 v11, -v11, v16, v15
	v_div_fmas_f32 v11, v11, v13, v16
	s_waitcnt lgkmcnt(0)
	v_pk_fma_f32 v[16:17], v[12:13], v[8:9], v[8:9] op_sel:[0,1,0] op_sel_hi:[1,0,1]
	v_pk_fma_f32 v[8:9], v[12:13], v[8:9], v[8:9] op_sel:[0,1,0] op_sel_hi:[0,0,1] neg_lo:[1,0,0] neg_hi:[1,0,0]
	v_div_fixup_f32 v10, v11, v10, 1.0
	v_mov_b32_e32 v17, v9
	v_pk_mul_f32 v[12:13], v[10:11], v[16:17] op_sel_hi:[0,1]
.LBB4_14:                               ;   in Loop: Header=BB4_9 Depth=2
	s_or_b64 exec, exec, s[38:39]
	ds_write_b64 v1, v[12:13]
.LBB4_15:                               ;   in Loop: Header=BB4_9 Depth=2
	s_or_b64 exec, exec, s[36:37]
	v_cmp_gt_u32_e32 vcc, s41, v14
	s_and_b64 s[38:39], s[34:35], vcc
	s_waitcnt lgkmcnt(0)
	s_barrier
	s_and_saveexec_b64 s[36:37], s[38:39]
	s_cbranch_execz .LBB4_8
; %bb.16:                               ;   in Loop: Header=BB4_9 Depth=2
	global_load_dwordx2 v[8:9], v[4:5], off
	v_mov_b32_e32 v10, s46
	ds_read_b64 v[10:11], v10
	ds_read_b64 v[12:13], v1
	s_waitcnt vmcnt(0) lgkmcnt(1)
	v_pk_mul_f32 v[16:17], v[8:9], v[10:11] op_sel:[1,1] op_sel_hi:[1,0]
	s_nop 0
	v_pk_fma_f32 v[18:19], v[8:9], v[10:11], v[16:17]
	v_pk_fma_f32 v[8:9], v[8:9], v[10:11], v[16:17] op_sel_hi:[0,1,1] neg_lo:[0,0,1] neg_hi:[0,0,1]
	v_mov_b32_e32 v19, v9
	s_waitcnt lgkmcnt(0)
	v_pk_add_f32 v[8:9], v[12:13], v[18:19] neg_lo:[0,1] neg_hi:[0,1]
	ds_write_b64 v1, v[8:9]
	s_branch .LBB4_8
.LBB4_17:                               ;   in Loop: Header=BB4_5 Depth=1
	s_add_i32 s46, s40, 0xfffffe00
	s_cmp_lt_i32 s40, 1
	s_cselect_b64 s[30:31], -1, 0
	s_and_b64 vcc, exec, s[30:31]
	s_waitcnt lgkmcnt(0)
	s_barrier
	s_cbranch_vccnz .LBB4_41
; %bb.18:                               ;   in Loop: Header=BB4_5 Depth=1
	v_ashrrev_i32_e32 v7, 31, v22
	v_mad_i64_i32 v[4:5], s[34:35], v22, -8, s[2:3]
	v_mov_b32_e32 v8, s33
	v_sub_co_u32_e32 v6, vcc, s12, v22
	s_mov_b64 s[34:35], 0
	s_nop 0
	v_subb_co_u32_e32 v7, vcc, v8, v7, vcc
	v_mov_b32_e32 v24, v22
	v_mov_b32_e32 v25, v0
	s_mov_b32 s47, s46
                                        ; implicit-def: $sgpr36_sgpr37
	s_branch .LBB4_21
.LBB4_19:                               ;   in Loop: Header=BB4_21 Depth=2
	v_mad_u64_u32 v[10:11], s[40:41], s6, v26, 0
	v_mov_b32_e32 v12, v11
	v_mad_u64_u32 v[12:13], s[40:41], s7, v26, v[12:13]
	v_mov_b32_e32 v11, v12
	v_lshl_add_u64 v[10:11], v[10:11], 3, s[4:5]
	global_load_dwordx2 v[12:13], v[10:11], off
	s_add_i32 s48, s47, 0xfffffe00
	s_cmp_lt_i32 s47, 1
	s_cselect_b64 s[40:41], -1, 0
	s_andn2_b64 s[36:37], s[36:37], exec
	s_and_b64 s[40:41], s[40:41], exec
	v_add_u32_e32 v25, 0xfffffe00, v25
	v_lshl_add_u64 v[4:5], v[4:5], 0, s[24:25]
	v_lshl_add_u64 v[6:7], v[6:7], 0, s[26:27]
	v_add_u32_e32 v24, 0xfffffe00, v24
	s_or_b64 s[36:37], s[36:37], s[40:41]
	s_mov_b32 s47, s48
	s_waitcnt vmcnt(0)
	v_pk_add_f32 v[8:9], v[12:13], v[8:9] neg_lo:[0,1] neg_hi:[0,1]
	global_store_dwordx2 v[10:11], v[8:9], off
.LBB4_20:                               ;   in Loop: Header=BB4_21 Depth=2
	s_or_b64 exec, exec, s[38:39]
	s_and_b64 s[38:39], exec, s[36:37]
	s_or_b64 s[34:35], s[38:39], s[34:35]
	s_andn2_b64 exec, exec, s[34:35]
	s_cbranch_execz .LBB4_40
.LBB4_21:                               ;   Parent Loop BB4_5 Depth=1
                                        ; =>  This Loop Header: Depth=2
                                        ;       Child Loop BB4_24 Depth 3
	v_add_u32_e32 v26, s47, v0
	v_cmp_lt_i32_e32 vcc, -1, v26
	s_or_b64 s[36:37], s[36:37], exec
	s_and_saveexec_b64 s[38:39], vcc
	s_cbranch_execz .LBB4_20
; %bb.22:                               ;   in Loop: Header=BB4_21 Depth=2
	v_mad_u64_u32 v[8:9], s[40:41], v6, v24, 0
	v_mov_b32_e32 v10, v9
	v_mad_u64_u32 v[10:11], s[40:41], v7, v24, v[10:11]
	v_mov_b32_e32 v9, v10
	v_lshlrev_b64 v[8:9], 2, v[8:9]
	v_and_b32_e32 v8, -8, v8
	v_lshl_add_u64 v[10:11], v[4:5], 0, v[8:9]
	v_mov_b32_e32 v8, 0
	s_movk_i32 s48, 0x3000
	s_movk_i32 s49, 0x200
	v_mov_b32_e32 v9, v8
	s_branch .LBB4_24
.LBB4_23:                               ;   in Loop: Header=BB4_24 Depth=3
	s_or_b64 exec, exec, s[40:41]
	s_waitcnt lgkmcnt(0)
	v_pk_add_f32 v[8:9], v[8:9], v[12:13]
	s_add_i32 s48, s48, 32
	v_pk_add_f32 v[8:9], v[8:9], v[14:15]
	s_add_i32 s49, s49, -4
	v_pk_add_f32 v[8:9], v[8:9], v[16:17]
	s_cmp_eq_u32 s49, 0
	v_pk_add_f32 v[8:9], v[8:9], v[18:19]
	v_lshl_add_u64 v[10:11], v[10:11], 0, 32
	s_cbranch_scc1 .LBB4_19
.LBB4_24:                               ;   Parent Loop BB4_5 Depth=1
                                        ;     Parent Loop BB4_21 Depth=2
                                        ; =>    This Inner Loop Header: Depth=3
	v_add_u32_e32 v18, s49, v25
	v_cmp_ne_u32_e32 vcc, s42, v18
	s_or_b64 s[40:41], s[28:29], vcc
                                        ; implicit-def: $vgpr13
	s_and_saveexec_b64 s[50:51], s[40:41]
	s_xor_b64 s[40:41], exec, s[50:51]
	s_cbranch_execz .LBB4_26
; %bb.25:                               ;   in Loop: Header=BB4_24 Depth=3
	global_load_dwordx2 v[12:13], v[10:11], off
	v_mov_b32_e32 v14, s48
	ds_read_b64 v[14:15], v14
	s_waitcnt vmcnt(0) lgkmcnt(0)
	v_pk_mul_f32 v[28:29], v[12:13], v[14:15] op_sel:[1,1] op_sel_hi:[1,0]
	v_pk_mul_f32 v[16:17], v[12:13], v[14:15]
	v_pk_fma_f32 v[12:13], v[12:13], v[14:15], v[28:29] op_sel_hi:[0,1,1] neg_lo:[0,0,1] neg_hi:[0,0,1]
	v_add_f32_e32 v12, v16, v28
.LBB4_26:                               ;   in Loop: Header=BB4_24 Depth=3
	s_andn2_saveexec_b64 s[40:41], s[40:41]
; %bb.27:                               ;   in Loop: Header=BB4_24 Depth=3
	v_mov_b32_e32 v12, s48
	ds_read_b64 v[12:13], v12
; %bb.28:                               ;   in Loop: Header=BB4_24 Depth=3
	s_or_b64 exec, exec, s[40:41]
	v_cmp_ne_u32_e32 vcc, s43, v18
	s_or_b64 s[40:41], s[28:29], vcc
                                        ; implicit-def: $vgpr15
	s_and_saveexec_b64 s[50:51], s[40:41]
	s_xor_b64 s[40:41], exec, s[50:51]
	s_cbranch_execz .LBB4_30
; %bb.29:                               ;   in Loop: Header=BB4_24 Depth=3
	global_load_dwordx2 v[14:15], v[10:11], off offset:8
	v_mov_b32_e32 v16, s48
	ds_read_b64 v[16:17], v16 offset:8
	s_waitcnt vmcnt(0) lgkmcnt(0)
	v_pk_mul_f32 v[30:31], v[14:15], v[16:17] op_sel:[1,1] op_sel_hi:[1,0]
	v_pk_mul_f32 v[28:29], v[14:15], v[16:17]
	v_pk_fma_f32 v[14:15], v[14:15], v[16:17], v[30:31] op_sel_hi:[0,1,1] neg_lo:[0,0,1] neg_hi:[0,0,1]
	v_add_f32_e32 v14, v28, v30
.LBB4_30:                               ;   in Loop: Header=BB4_24 Depth=3
	s_andn2_saveexec_b64 s[40:41], s[40:41]
; %bb.31:                               ;   in Loop: Header=BB4_24 Depth=3
	v_mov_b32_e32 v14, s48
	ds_read_b64 v[14:15], v14 offset:8
; %bb.32:                               ;   in Loop: Header=BB4_24 Depth=3
	s_or_b64 exec, exec, s[40:41]
	v_cmp_ne_u32_e32 vcc, s44, v18
	s_or_b64 s[40:41], s[28:29], vcc
                                        ; implicit-def: $vgpr17
	s_and_saveexec_b64 s[50:51], s[40:41]
	s_xor_b64 s[40:41], exec, s[50:51]
	s_cbranch_execz .LBB4_34
; %bb.33:                               ;   in Loop: Header=BB4_24 Depth=3
	global_load_dwordx2 v[16:17], v[10:11], off offset:16
	v_mov_b32_e32 v19, s48
	ds_read_b64 v[28:29], v19 offset:16
	s_waitcnt vmcnt(0) lgkmcnt(0)
	v_pk_mul_f32 v[32:33], v[16:17], v[28:29] op_sel:[1,1] op_sel_hi:[1,0]
	v_pk_mul_f32 v[30:31], v[16:17], v[28:29]
	v_pk_fma_f32 v[16:17], v[16:17], v[28:29], v[32:33] op_sel_hi:[0,1,1] neg_lo:[0,0,1] neg_hi:[0,0,1]
	v_add_f32_e32 v16, v30, v32
.LBB4_34:                               ;   in Loop: Header=BB4_24 Depth=3
	s_andn2_saveexec_b64 s[40:41], s[40:41]
; %bb.35:                               ;   in Loop: Header=BB4_24 Depth=3
	v_mov_b32_e32 v16, s48
	ds_read_b64 v[16:17], v16 offset:16
; %bb.36:                               ;   in Loop: Header=BB4_24 Depth=3
	s_or_b64 exec, exec, s[40:41]
	v_cmp_ne_u32_e32 vcc, s45, v18
	s_or_b64 s[40:41], s[28:29], vcc
                                        ; implicit-def: $vgpr19
	s_and_saveexec_b64 s[50:51], s[40:41]
	s_xor_b64 s[40:41], exec, s[50:51]
	s_cbranch_execz .LBB4_38
; %bb.37:                               ;   in Loop: Header=BB4_24 Depth=3
	global_load_dwordx2 v[18:19], v[10:11], off offset:24
	v_mov_b32_e32 v27, s48
	ds_read_b64 v[28:29], v27 offset:24
	s_waitcnt vmcnt(0) lgkmcnt(0)
	v_pk_mul_f32 v[32:33], v[18:19], v[28:29] op_sel:[1,1] op_sel_hi:[1,0]
	v_pk_mul_f32 v[30:31], v[18:19], v[28:29]
	v_pk_fma_f32 v[18:19], v[18:19], v[28:29], v[32:33] op_sel_hi:[0,1,1] neg_lo:[0,0,1] neg_hi:[0,0,1]
	v_add_f32_e32 v18, v30, v32
.LBB4_38:                               ;   in Loop: Header=BB4_24 Depth=3
	s_andn2_saveexec_b64 s[40:41], s[40:41]
	s_cbranch_execz .LBB4_23
; %bb.39:                               ;   in Loop: Header=BB4_24 Depth=3
	v_mov_b32_e32 v18, s48
	ds_read_b64 v[18:19], v18 offset:24
	s_branch .LBB4_23
.LBB4_40:                               ;   in Loop: Header=BB4_5 Depth=1
	s_or_b64 exec, exec, s[34:35]
.LBB4_41:                               ;   in Loop: Header=BB4_5 Depth=1
	s_and_saveexec_b64 s[34:35], s[0:1]
	s_cbranch_execz .LBB4_4
; %bb.42:                               ;   in Loop: Header=BB4_5 Depth=1
	v_mad_u64_u32 v[4:5], s[0:1], s6, v23, 0
	ds_read_b64 v[8:9], v1
	v_mov_b32_e32 v6, v5
	v_mad_u64_u32 v[6:7], s[0:1], s7, v23, v[6:7]
	v_mov_b32_e32 v5, v6
	v_lshl_add_u64 v[4:5], v[4:5], 3, s[4:5]
	s_waitcnt lgkmcnt(0)
	global_store_dwordx2 v[4:5], v[8:9], off
	s_branch .LBB4_4
.LBB4_43:
	s_mov_b64 s[0:1], 0
.LBB4_44:
	s_andn2_b64 vcc, exec, s[0:1]
	s_cbranch_vccnz .LBB4_91
; %bb.45:
	s_andn2_b64 vcc, exec, s[14:15]
	s_cbranch_vccnz .LBB4_91
; %bb.46:
	s_add_u32 s0, s18, s22
	s_addc_u32 s1, s19, s23
	s_add_u32 s2, s16, s0
	v_mov_b32_e32 v1, 0x1000
	s_addc_u32 s3, s17, s1
	v_mov_b32_e32 v2, 0
	v_lshl_or_b32 v20, v0, 3, v1
	s_add_u32 s24, s2, 4
	v_mov_b32_e32 v1, v2
	s_addc_u32 s25, s3, 0
	v_mad_u64_u32 v[4:5], s[0:1], v0, v0, v[0:1]
	v_lshlrev_b32_e32 v6, 10, v0
	v_mov_b32_e32 v7, v2
	s_mov_b64 s[0:1], 0x40200
	s_add_u32 s26, s2, 28
	v_lshl_add_u64 v[8:9], v[6:7], 0, s[0:1]
	v_or_b32_e32 v6, 0x200, v0
	s_mov_b32 s12, 0
	v_add_u32_e32 v1, 0x201, v0
	s_addc_u32 s27, s3, 0
	s_xor_b64 s[28:29], s[8:9], -1
	s_mov_b64 s[30:31], 0x200
	s_mov_b64 s[34:35], 0x80000
	s_branch .LBB4_48
.LBB4_47:                               ;   in Loop: Header=BB4_48 Depth=1
	s_or_b64 exec, exec, s[36:37]
	s_add_u32 s24, s24, 0x1000
	s_addc_u32 s25, s25, 0
	v_lshl_add_u64 v[10:11], v[8:9], 0, s[34:35]
	s_add_u32 s26, s26, 0x1000
	v_lshl_add_u64 v[4:5], v[4:5], 0, v[8:9]
	v_lshl_add_u64 v[6:7], v[6:7], 0, s[30:31]
	v_add_u32_e32 v1, 0x200, v1
	s_addc_u32 s27, s27, 0
	s_and_b64 vcc, exec, s[2:3]
	v_mov_b64_e32 v[8:9], v[10:11]
	s_mov_b32 s12, s33
	s_barrier
	s_cbranch_vccnz .LBB4_91
.LBB4_48:                               ; =>This Loop Header: Depth=1
                                        ;     Child Loop BB4_52 Depth 2
                                        ;     Child Loop BB4_65 Depth 2
                                        ;       Child Loop BB4_68 Depth 3
	v_add_u32_e32 v21, s12, v0
	v_cmp_le_i32_e32 vcc, s13, v21
	v_cmp_gt_i32_e64 s[0:1], s13, v21
	s_and_saveexec_b64 s[2:3], s[0:1]
	s_cbranch_execz .LBB4_50
; %bb.49:                               ;   in Loop: Header=BB4_48 Depth=1
	v_mad_u64_u32 v[10:11], s[36:37], s6, v21, 0
	v_mov_b32_e32 v12, v11
	v_mad_u64_u32 v[12:13], s[36:37], s7, v21, v[12:13]
	v_mov_b32_e32 v11, v12
	v_lshl_add_u64 v[10:11], v[10:11], 3, s[4:5]
	global_load_dwordx2 v[10:11], v[10:11], off
	s_waitcnt vmcnt(0)
	ds_write_b64 v20, v[10:11]
.LBB4_50:                               ;   in Loop: Header=BB4_48 Depth=1
	s_or_b64 exec, exec, s[2:3]
	v_or_b32_e32 v12, s12, v0
	v_add_u32_e32 v3, 1, v12
	v_mad_u64_u32 v[14:15], s[36:37], v3, v12, 0
	v_lshlrev_b64 v[14:15], 2, v[14:15]
	v_lshlrev_b64 v[10:11], 2, v[4:5]
	v_and_b32_e32 v14, -8, v14
	v_and_b32_e32 v10, -8, v10
	v_mov_b32_e32 v13, v2
	v_lshl_add_u64 v[14:15], s[10:11], 0, v[14:15]
	v_lshl_add_u64 v[10:11], s[24:25], 0, v[10:11]
	v_cmp_le_i32_e64 s[2:3], s13, v12
	v_lshl_add_u64 v[12:13], v[12:13], 3, v[14:15]
	s_mov_b32 s33, 0
	s_movk_i32 s42, 0x1000
	s_xor_b64 s[36:37], vcc, -1
	s_waitcnt lgkmcnt(0)
	s_barrier
	s_branch .LBB4_52
.LBB4_51:                               ;   in Loop: Header=BB4_52 Depth=2
	s_or_b64 exec, exec, s[38:39]
	s_add_i32 s33, s33, 1
	s_add_i32 s42, s42, 8
	s_cmpk_eq_i32 s33, 0x200
	v_lshl_add_u64 v[10:11], v[10:11], 0, 8
	s_cbranch_scc1 .LBB4_61
.LBB4_52:                               ;   Parent Loop BB4_48 Depth=1
                                        ; =>  This Inner Loop Header: Depth=2
	v_cmp_ne_u32_e32 vcc, s33, v0
	s_or_b64 s[38:39], s[8:9], vcc
	s_nor_b64 s[40:41], s[38:39], s[2:3]
	s_and_saveexec_b64 s[38:39], s[40:41]
	s_cbranch_execz .LBB4_58
; %bb.53:                               ;   in Loop: Header=BB4_52 Depth=2
	global_load_dwordx2 v[16:17], v[12:13], off
	ds_read_b64 v[14:15], v20
                                        ; implicit-def: $vgpr18_vgpr19
	s_waitcnt vmcnt(0)
	v_cmp_ngt_f32_e64 s[40:41], |v16|, |v17|
	s_and_saveexec_b64 s[44:45], s[40:41]
	s_xor_b64 s[40:41], exec, s[44:45]
	s_cbranch_execz .LBB4_55
; %bb.54:                               ;   in Loop: Header=BB4_52 Depth=2
	v_div_scale_f32 v3, s[44:45], -v17, -v17, v16
	v_rcp_f32_e32 v18, v3
	v_div_scale_f32 v19, vcc, v16, -v17, v16
	v_fma_f32 v22, -v3, v18, 1.0
	v_fmac_f32_e32 v18, v22, v18
	v_mul_f32_e32 v22, v19, v18
	v_fma_f32 v23, -v3, v22, v19
	v_fmac_f32_e32 v22, v23, v18
	v_fma_f32 v3, -v3, v22, v19
	v_div_fmas_f32 v3, v3, v18, v22
	v_div_fixup_f32 v18, v3, -v17, v16
	v_fma_f32 v3, v16, v18, -v17
	v_div_scale_f32 v16, s[44:45], v3, v3, 1.0
	v_rcp_f32_e32 v17, v16
	s_nop 0
	v_fma_f32 v19, -v16, v17, 1.0
	v_fmac_f32_e32 v17, v19, v17
	v_div_scale_f32 v19, vcc, 1.0, v3, 1.0
	v_mul_f32_e32 v22, v19, v17
	v_fma_f32 v23, -v16, v22, v19
	v_fmac_f32_e32 v22, v23, v17
	v_fma_f32 v16, -v16, v22, v19
	v_div_fmas_f32 v16, v16, v17, v22
	s_waitcnt lgkmcnt(0)
	v_pk_fma_f32 v[22:23], v[18:19], v[14:15], v[14:15] op_sel:[0,0,1] op_sel_hi:[1,1,0]
	v_pk_fma_f32 v[14:15], v[18:19], v[14:15], v[14:15] op_sel:[0,0,1] op_sel_hi:[0,1,0] neg_lo:[0,0,1] neg_hi:[0,0,1]
	v_div_fixup_f32 v16, v16, v3, 1.0
	v_mov_b32_e32 v23, v15
	v_pk_mul_f32 v[18:19], v[16:17], v[22:23] op_sel_hi:[0,1]
                                        ; implicit-def: $vgpr16_vgpr17
                                        ; implicit-def: $vgpr14_vgpr15
.LBB4_55:                               ;   in Loop: Header=BB4_52 Depth=2
	s_andn2_saveexec_b64 s[40:41], s[40:41]
	s_cbranch_execz .LBB4_57
; %bb.56:                               ;   in Loop: Header=BB4_52 Depth=2
	v_div_scale_f32 v3, s[44:45], v16, v16, -v17
	v_rcp_f32_e32 v18, v3
	v_div_scale_f32 v19, vcc, -v17, v16, -v17
	v_fma_f32 v22, -v3, v18, 1.0
	v_fmac_f32_e32 v18, v22, v18
	v_mul_f32_e32 v22, v19, v18
	v_fma_f32 v23, -v3, v22, v19
	v_fmac_f32_e32 v22, v23, v18
	v_fma_f32 v3, -v3, v22, v19
	v_div_fmas_f32 v3, v3, v18, v22
	v_div_fixup_f32 v18, v3, v16, -v17
	v_fma_f32 v3, -v17, v18, v16
	v_div_scale_f32 v16, s[44:45], v3, v3, 1.0
	v_rcp_f32_e32 v17, v16
	s_nop 0
	v_fma_f32 v19, -v16, v17, 1.0
	v_fmac_f32_e32 v17, v19, v17
	v_div_scale_f32 v19, vcc, 1.0, v3, 1.0
	v_mul_f32_e32 v22, v19, v17
	v_fma_f32 v23, -v16, v22, v19
	v_fmac_f32_e32 v22, v23, v17
	v_fma_f32 v16, -v16, v22, v19
	v_div_fmas_f32 v16, v16, v17, v22
	s_waitcnt lgkmcnt(0)
	v_pk_fma_f32 v[22:23], v[18:19], v[14:15], v[14:15] op_sel:[0,1,0] op_sel_hi:[1,0,1]
	v_pk_fma_f32 v[14:15], v[18:19], v[14:15], v[14:15] op_sel:[0,1,0] op_sel_hi:[0,0,1] neg_lo:[1,0,0] neg_hi:[1,0,0]
	v_div_fixup_f32 v16, v16, v3, 1.0
	v_mov_b32_e32 v23, v15
	v_pk_mul_f32 v[18:19], v[16:17], v[22:23] op_sel_hi:[0,1]
.LBB4_57:                               ;   in Loop: Header=BB4_52 Depth=2
	s_or_b64 exec, exec, s[40:41]
	ds_write_b64 v20, v[18:19]
.LBB4_58:                               ;   in Loop: Header=BB4_52 Depth=2
	s_or_b64 exec, exec, s[38:39]
	v_cmp_lt_u32_e32 vcc, s33, v0
	s_waitcnt lgkmcnt(0)
	s_barrier
	s_and_saveexec_b64 s[38:39], vcc
	s_cbranch_execz .LBB4_51
; %bb.59:                               ;   in Loop: Header=BB4_52 Depth=2
	s_add_i32 s40, s12, s33
	s_cmp_lt_i32 s40, s13
	s_cselect_b64 s[40:41], -1, 0
	s_and_b64 s[40:41], s[36:37], s[40:41]
	s_and_b64 exec, exec, s[40:41]
	s_cbranch_execz .LBB4_51
; %bb.60:                               ;   in Loop: Header=BB4_52 Depth=2
	global_load_dwordx2 v[14:15], v[10:11], off offset:-4
	v_mov_b32_e32 v3, s42
	ds_read_b64 v[16:17], v3
	ds_read_b64 v[18:19], v20
	s_waitcnt vmcnt(0) lgkmcnt(1)
	v_pk_mul_f32 v[22:23], v[14:15], v[16:17] op_sel:[1,1] op_sel_hi:[1,0]
	s_nop 0
	v_pk_fma_f32 v[24:25], v[14:15], v[16:17], v[22:23]
	v_pk_fma_f32 v[14:15], v[14:15], v[16:17], v[22:23] op_sel_hi:[0,1,1] neg_lo:[0,0,1] neg_hi:[0,0,1]
	v_mov_b32_e32 v25, v15
	s_waitcnt lgkmcnt(0)
	v_pk_add_f32 v[14:15], v[18:19], v[24:25] neg_lo:[0,1] neg_hi:[0,1]
	ds_write_b64 v20, v[14:15]
	s_branch .LBB4_51
.LBB4_61:                               ;   in Loop: Header=BB4_48 Depth=1
	s_add_i32 s33, s12, 0x200
	s_cmp_ge_i32 s33, s13
	s_cselect_b64 s[2:3], -1, 0
	s_and_b64 vcc, exec, s[2:3]
	s_waitcnt lgkmcnt(0)
	s_barrier
	s_cbranch_vccnz .LBB4_89
; %bb.62:                               ;   in Loop: Header=BB4_48 Depth=1
	s_mov_b64 s[36:37], 0
	v_mov_b32_e32 v16, v1
	v_mov_b64_e32 v[10:11], v[6:7]
	v_mov_b32_e32 v17, v0
	s_mov_b32 s46, s33
                                        ; implicit-def: $sgpr38_sgpr39
	s_branch .LBB4_65
.LBB4_63:                               ;   in Loop: Header=BB4_65 Depth=2
	v_mad_u64_u32 v[14:15], s[42:43], s6, v18, 0
	v_mov_b32_e32 v22, v15
	v_mad_u64_u32 v[18:19], s[42:43], s7, v18, v[22:23]
	v_mov_b32_e32 v15, v18
	v_lshl_add_u64 v[14:15], v[14:15], 3, s[4:5]
	global_load_dwordx2 v[18:19], v[14:15], off
	s_addk_i32 s46, 0x200
	s_cmp_ge_i32 s46, s13
	s_cselect_b64 s[42:43], -1, 0
	s_andn2_b64 s[38:39], s[38:39], exec
	s_and_b64 s[42:43], s[42:43], exec
	v_lshl_add_u64 v[10:11], v[10:11], 0, s[30:31]
	v_add_u32_e32 v16, 0x200, v16
	s_or_b64 s[38:39], s[38:39], s[42:43]
	s_waitcnt vmcnt(0)
	v_pk_add_f32 v[12:13], v[18:19], v[12:13] neg_lo:[0,1] neg_hi:[0,1]
	global_store_dwordx2 v[14:15], v[12:13], off
.LBB4_64:                               ;   in Loop: Header=BB4_65 Depth=2
	s_or_b64 exec, exec, s[40:41]
	s_and_b64 s[40:41], exec, s[38:39]
	s_or_b64 s[36:37], s[40:41], s[36:37]
	s_andn2_b64 exec, exec, s[36:37]
	s_cbranch_execz .LBB4_88
.LBB4_65:                               ;   Parent Loop BB4_48 Depth=1
                                        ; =>  This Loop Header: Depth=2
                                        ;       Child Loop BB4_68 Depth 3
	v_add_u32_e32 v18, s46, v0
	v_cmp_gt_i32_e32 vcc, s13, v18
	s_or_b64 s[38:39], s[38:39], exec
	s_and_saveexec_b64 s[40:41], vcc
	s_cbranch_execz .LBB4_64
; %bb.66:                               ;   in Loop: Header=BB4_65 Depth=2
	v_mad_u64_u32 v[12:13], s[42:43], v10, v16, 0
	v_mov_b32_e32 v14, v13
	v_mad_u64_u32 v[14:15], s[42:43], v11, v16, v[14:15]
	v_mov_b32_e32 v13, v14
	v_lshlrev_b64 v[14:15], 2, v[12:13]
	v_mov_b32_e32 v3, v2
	v_and_b32_e32 v14, -8, v14
	v_add_u32_e32 v19, 0x1fd, v17
	v_add_u32_e32 v22, 0x1fe, v17
	;; [unrolled: 1-line block ×4, first 2 shown]
	s_mov_b32 s47, 0
	s_movk_i32 s48, 0x1000
	s_mov_b64 s[42:43], s[26:27]
	v_mov_b64_e32 v[12:13], v[2:3]
	s_branch .LBB4_68
.LBB4_67:                               ;   in Loop: Header=BB4_68 Depth=3
	s_or_b64 exec, exec, s[44:45]
	s_add_i32 s47, s47, 4
	s_add_i32 s48, s48, 32
	s_add_u32 s42, s42, 32
	s_addc_u32 s43, s43, 0
	s_cmpk_eq_i32 s47, 0x200
	s_cbranch_scc1 .LBB4_63
.LBB4_68:                               ;   Parent Loop BB4_48 Depth=1
                                        ;     Parent Loop BB4_65 Depth=2
                                        ; =>    This Inner Loop Header: Depth=3
	v_cmp_ne_u32_e32 vcc, s47, v17
	s_add_i32 s49, s12, s47
	s_or_b64 s[44:45], s[28:29], vcc
	s_and_saveexec_b64 s[50:51], s[44:45]
	s_xor_b64 s[44:45], exec, s[50:51]
	s_cbranch_execz .LBB4_71
; %bb.69:                               ;   in Loop: Header=BB4_68 Depth=3
	s_cmp_ge_i32 s49, s13
	s_cbranch_scc1 .LBB4_71
; %bb.70:                               ;   in Loop: Header=BB4_68 Depth=3
	v_lshl_add_u64 v[24:25], s[42:43], 0, v[14:15]
	global_load_dwordx2 v[24:25], v[24:25], off offset:-28
	v_mov_b32_e32 v3, s48
	ds_read_b64 v[26:27], v3
	s_waitcnt vmcnt(0) lgkmcnt(0)
	v_pk_mul_f32 v[28:29], v[24:25], v[26:27] op_sel:[1,1] op_sel_hi:[1,0]
	s_nop 0
	v_pk_fma_f32 v[30:31], v[24:25], v[26:27], v[28:29]
	v_pk_fma_f32 v[24:25], v[24:25], v[26:27], v[28:29] op_sel_hi:[0,1,1] neg_lo:[0,0,1] neg_hi:[0,0,1]
	v_mov_b32_e32 v31, v25
	v_pk_add_f32 v[12:13], v[12:13], v[30:31]
.LBB4_71:                               ;   in Loop: Header=BB4_68 Depth=3
	s_andn2_saveexec_b64 s[44:45], s[44:45]
	s_cbranch_execz .LBB4_73
; %bb.72:                               ;   in Loop: Header=BB4_68 Depth=3
	v_mov_b32_e32 v3, s48
	ds_read_b64 v[24:25], v3
	s_waitcnt lgkmcnt(0)
	v_pk_add_f32 v[12:13], v[12:13], v[24:25]
.LBB4_73:                               ;   in Loop: Header=BB4_68 Depth=3
	s_or_b64 exec, exec, s[44:45]
	v_cmp_ne_u32_e32 vcc, s47, v23
	s_or_b64 s[44:45], s[28:29], vcc
	s_and_saveexec_b64 s[50:51], s[44:45]
	s_xor_b64 s[44:45], exec, s[50:51]
	s_cbranch_execz .LBB4_76
; %bb.74:                               ;   in Loop: Header=BB4_68 Depth=3
	s_add_i32 s50, s49, 1
	s_cmp_ge_i32 s50, s13
	s_cbranch_scc1 .LBB4_76
; %bb.75:                               ;   in Loop: Header=BB4_68 Depth=3
	v_lshl_add_u64 v[24:25], s[42:43], 0, v[14:15]
	global_load_dwordx2 v[24:25], v[24:25], off offset:-20
	v_mov_b32_e32 v3, s48
	ds_read_b64 v[26:27], v3 offset:8
	s_waitcnt vmcnt(0) lgkmcnt(0)
	v_pk_mul_f32 v[28:29], v[24:25], v[26:27] op_sel:[1,1] op_sel_hi:[1,0]
	s_nop 0
	v_pk_fma_f32 v[30:31], v[24:25], v[26:27], v[28:29]
	v_pk_fma_f32 v[24:25], v[24:25], v[26:27], v[28:29] op_sel_hi:[0,1,1] neg_lo:[0,0,1] neg_hi:[0,0,1]
	v_mov_b32_e32 v31, v25
	v_pk_add_f32 v[12:13], v[12:13], v[30:31]
.LBB4_76:                               ;   in Loop: Header=BB4_68 Depth=3
	s_andn2_saveexec_b64 s[44:45], s[44:45]
	s_cbranch_execz .LBB4_78
; %bb.77:                               ;   in Loop: Header=BB4_68 Depth=3
	v_mov_b32_e32 v3, s48
	ds_read_b64 v[24:25], v3 offset:8
	s_waitcnt lgkmcnt(0)
	v_pk_add_f32 v[12:13], v[12:13], v[24:25]
.LBB4_78:                               ;   in Loop: Header=BB4_68 Depth=3
	s_or_b64 exec, exec, s[44:45]
	v_cmp_ne_u32_e32 vcc, s47, v22
	s_or_b64 s[44:45], s[28:29], vcc
	s_and_saveexec_b64 s[50:51], s[44:45]
	s_xor_b64 s[44:45], exec, s[50:51]
	s_cbranch_execz .LBB4_81
; %bb.79:                               ;   in Loop: Header=BB4_68 Depth=3
	s_add_i32 s50, s49, 2
	s_cmp_ge_i32 s50, s13
	s_cbranch_scc1 .LBB4_81
; %bb.80:                               ;   in Loop: Header=BB4_68 Depth=3
	v_lshl_add_u64 v[24:25], s[42:43], 0, v[14:15]
	global_load_dwordx2 v[24:25], v[24:25], off offset:-12
	v_mov_b32_e32 v3, s48
	ds_read_b64 v[26:27], v3 offset:16
	s_waitcnt vmcnt(0) lgkmcnt(0)
	v_pk_mul_f32 v[28:29], v[24:25], v[26:27] op_sel:[1,1] op_sel_hi:[1,0]
	s_nop 0
	v_pk_fma_f32 v[30:31], v[24:25], v[26:27], v[28:29]
	v_pk_fma_f32 v[24:25], v[24:25], v[26:27], v[28:29] op_sel_hi:[0,1,1] neg_lo:[0,0,1] neg_hi:[0,0,1]
	v_mov_b32_e32 v31, v25
	v_pk_add_f32 v[12:13], v[12:13], v[30:31]
.LBB4_81:                               ;   in Loop: Header=BB4_68 Depth=3
	s_andn2_saveexec_b64 s[44:45], s[44:45]
	s_cbranch_execz .LBB4_83
; %bb.82:                               ;   in Loop: Header=BB4_68 Depth=3
	v_mov_b32_e32 v3, s48
	ds_read_b64 v[24:25], v3 offset:16
	s_waitcnt lgkmcnt(0)
	v_pk_add_f32 v[12:13], v[12:13], v[24:25]
.LBB4_83:                               ;   in Loop: Header=BB4_68 Depth=3
	s_or_b64 exec, exec, s[44:45]
	v_cmp_ne_u32_e32 vcc, s47, v19
	s_or_b64 s[44:45], s[28:29], vcc
	s_and_saveexec_b64 s[50:51], s[44:45]
	s_xor_b64 s[44:45], exec, s[50:51]
	s_cbranch_execz .LBB4_86
; %bb.84:                               ;   in Loop: Header=BB4_68 Depth=3
	s_add_i32 s49, s49, 3
	s_cmp_ge_i32 s49, s13
	s_cbranch_scc1 .LBB4_86
; %bb.85:                               ;   in Loop: Header=BB4_68 Depth=3
	v_lshl_add_u64 v[24:25], s[42:43], 0, v[14:15]
	global_load_dwordx2 v[24:25], v[24:25], off offset:-4
	v_mov_b32_e32 v3, s48
	ds_read_b64 v[26:27], v3 offset:24
	s_waitcnt vmcnt(0) lgkmcnt(0)
	v_pk_mul_f32 v[28:29], v[24:25], v[26:27] op_sel:[1,1] op_sel_hi:[1,0]
	s_nop 0
	v_pk_fma_f32 v[30:31], v[24:25], v[26:27], v[28:29]
	v_pk_fma_f32 v[24:25], v[24:25], v[26:27], v[28:29] op_sel_hi:[0,1,1] neg_lo:[0,0,1] neg_hi:[0,0,1]
	v_mov_b32_e32 v31, v25
	v_pk_add_f32 v[12:13], v[12:13], v[30:31]
.LBB4_86:                               ;   in Loop: Header=BB4_68 Depth=3
	s_andn2_saveexec_b64 s[44:45], s[44:45]
	s_cbranch_execz .LBB4_67
; %bb.87:                               ;   in Loop: Header=BB4_68 Depth=3
	v_mov_b32_e32 v3, s48
	ds_read_b64 v[24:25], v3 offset:24
	s_waitcnt lgkmcnt(0)
	v_pk_add_f32 v[12:13], v[12:13], v[24:25]
	s_branch .LBB4_67
.LBB4_88:                               ;   in Loop: Header=BB4_48 Depth=1
	s_or_b64 exec, exec, s[36:37]
.LBB4_89:                               ;   in Loop: Header=BB4_48 Depth=1
	s_and_saveexec_b64 s[36:37], s[0:1]
	s_cbranch_execz .LBB4_47
; %bb.90:                               ;   in Loop: Header=BB4_48 Depth=1
	v_mad_u64_u32 v[10:11], s[0:1], s6, v21, 0
	ds_read_b64 v[14:15], v20
	v_mov_b32_e32 v12, v11
	v_mad_u64_u32 v[12:13], s[0:1], s7, v21, v[12:13]
	v_mov_b32_e32 v11, v12
	v_lshl_add_u64 v[10:11], v[10:11], 3, s[4:5]
	s_waitcnt lgkmcnt(0)
	global_store_dwordx2 v[10:11], v[14:15], off
	s_branch .LBB4_47
.LBB4_91:
	s_mov_b64 s[0:1], 0
.LBB4_92:
	s_andn2_b64 vcc, exec, s[0:1]
	s_cbranch_vccnz .LBB4_166
; %bb.93:
	s_mov_b64 s[0:1], -1
	s_and_b64 vcc, exec, s[20:21]
	s_cbranch_vccz .LBB4_132
; %bb.94:
	s_andn2_b64 vcc, exec, s[14:15]
	s_cbranch_vccnz .LBB4_131
; %bb.95:
	s_lshl_b32 s20, s13, 1
	s_or_b32 s12, s20, 1
	s_ashr_i32 s21, s20, 31
	s_add_u32 s0, s18, s22
	s_addc_u32 s1, s19, s23
	s_add_u32 s16, s16, s0
	s_addc_u32 s17, s17, s1
	s_lshl_b64 s[0:1], s[20:21], 9
	s_add_u32 s42, s0, 0xfffc0200
	s_addc_u32 s43, s1, -1
	s_add_u32 s18, s16, -8
	s_addc_u32 s19, s17, -1
	s_add_u32 s36, s0, 0xfffbfe00
	s_addc_u32 s37, s1, -1
	s_lshl_b64 s[0:1], s[20:21], 1
	s_add_u32 s22, s0, -6
	v_mov_b32_e32 v4, 0
	s_addc_u32 s23, s1, -1
	v_lshlrev_b32_e32 v2, 3, v0
	v_mov_b32_e32 v3, v4
	s_add_u32 s24, s0, -2
	v_mov_b32_e32 v1, v4
	v_lshl_add_u64 v[6:7], s[16:17], 0, v[2:3]
	v_or_b32_e32 v8, 0x200, v0
	s_addc_u32 s25, s1, -1
	s_mov_b64 s[26:27], 0
	s_mov_b64 s[28:29], 0x200
	;; [unrolled: 1-line block ×7, first 2 shown]
	s_branch .LBB4_97
.LBB4_96:                               ;   in Loop: Header=BB4_97 Depth=1
	s_or_b64 exec, exec, s[44:45]
	s_add_u32 s0, s42, 0xfff80000
	s_addc_u32 s1, s43, -1
	s_add_u32 s26, s26, s42
	s_addc_u32 s27, s27, s43
	s_add_u32 s40, s40, 0xfffffc00
	s_addc_u32 s41, s41, -1
	s_add_u32 s38, s38, 0xfffffe00
	s_addc_u32 s39, s39, -1
	;; [unrolled: 2-line block ×3, first 2 shown]
	s_add_u32 s20, s20, s36
	s_addc_u32 s21, s21, s37
	s_add_u32 s22, s22, 0xfffff800
	s_addc_u32 s23, s23, -1
	s_add_u32 s24, s24, 0xfffff800
	v_add_u32_e32 v8, 0x200, v8
	s_addc_u32 s25, s25, -1
	s_and_b64 vcc, exec, s[46:47]
	s_mov_b64 s[36:37], s[42:43]
	s_mov_b64 s[42:43], s[0:1]
	;; [unrolled: 1-line block ×3, first 2 shown]
	s_barrier
	s_cbranch_vccnz .LBB4_131
.LBB4_97:                               ; =>This Loop Header: Depth=1
                                        ;     Child Loop BB4_101 Depth 2
                                        ;     Child Loop BB4_114 Depth 2
                                        ;       Child Loop BB4_116 Depth 3
	v_add_u32_e32 v3, s44, v0
	v_cmp_le_i32_e32 vcc, s13, v3
	v_cmp_gt_i32_e64 s[0:1], s13, v3
	s_and_saveexec_b64 s[2:3], s[0:1]
	s_cbranch_execz .LBB4_99
; %bb.98:                               ;   in Loop: Header=BB4_97 Depth=1
	v_mad_u64_u32 v[10:11], s[46:47], s6, v3, 0
	v_mov_b32_e32 v12, v11
	v_mad_u64_u32 v[12:13], s[46:47], s7, v3, v[12:13]
	v_mov_b32_e32 v11, v12
	v_lshl_add_u64 v[10:11], v[10:11], 3, s[4:5]
	global_load_dwordx2 v[10:11], v[10:11], off
	s_waitcnt vmcnt(0)
	ds_write_b64 v2, v[10:11]
.LBB4_99:                               ;   in Loop: Header=BB4_97 Depth=1
	s_or_b64 exec, exec, s[2:3]
	v_or_b32_e32 v5, s44, v0
	v_sub_u32_e32 v9, s12, v5
	v_mad_u64_u32 v[10:11], s[46:47], v9, v5, 0
	v_ashrrev_i32_e32 v13, 31, v9
	v_mov_b32_e32 v12, v11
	v_mad_u64_u32 v[12:13], s[46:47], v13, v5, v[12:13]
	v_mov_b32_e32 v11, v12
	v_lshlrev_b64 v[10:11], 2, v[10:11]
	v_and_b32_e32 v10, -8, v10
	v_cmp_le_i32_e64 s[2:3], s13, v5
	v_lshl_add_u64 v[10:11], s[10:11], 0, v[10:11]
	s_mov_b64 s[46:47], 0
	s_mov_b32 s33, 0
	s_xor_b64 s[48:49], vcc, -1
	s_mov_b64 s[50:51], s[26:27]
	s_mov_b64 s[52:53], s[40:41]
	v_mov_b64_e32 v[12:13], v[6:7]
	s_waitcnt lgkmcnt(0)
	s_barrier
	s_branch .LBB4_101
.LBB4_100:                              ;   in Loop: Header=BB4_101 Depth=2
	s_or_b64 exec, exec, s[54:55]
	s_add_u32 s46, s46, 1
	s_addc_u32 s47, s47, 0
	s_add_u32 s54, s52, -2
	s_addc_u32 s55, s53, -1
	s_add_u32 s50, s50, s52
	s_addc_u32 s51, s51, s53
	s_add_i32 s33, s33, 8
	v_lshl_add_u64 v[12:13], v[12:13], 0, -8
	s_cmpk_eq_i32 s46, 0x200
	s_mov_b64 s[52:53], s[54:55]
	s_cbranch_scc1 .LBB4_110
.LBB4_101:                              ;   Parent Loop BB4_97 Depth=1
                                        ; =>  This Inner Loop Header: Depth=2
	v_cmp_ne_u32_e32 vcc, s46, v0
	s_or_b64 s[54:55], s[8:9], vcc
	s_nor_b64 s[56:57], s[54:55], s[2:3]
	s_and_saveexec_b64 s[54:55], s[56:57]
	s_cbranch_execz .LBB4_107
; %bb.102:                              ;   in Loop: Header=BB4_101 Depth=2
	global_load_dwordx2 v[16:17], v[10:11], off
	ds_read_b64 v[14:15], v2
                                        ; implicit-def: $vgpr18_vgpr19
	s_waitcnt vmcnt(0)
	v_cmp_ngt_f32_e64 s[56:57], |v16|, |v17|
	s_and_saveexec_b64 s[58:59], s[56:57]
	s_xor_b64 s[56:57], exec, s[58:59]
	s_cbranch_execz .LBB4_104
; %bb.103:                              ;   in Loop: Header=BB4_101 Depth=2
	v_div_scale_f32 v5, s[58:59], v17, v17, v16
	v_rcp_f32_e32 v9, v5
	v_div_scale_f32 v18, vcc, v16, v17, v16
	v_fma_f32 v19, -v5, v9, 1.0
	v_fmac_f32_e32 v9, v19, v9
	v_mul_f32_e32 v19, v18, v9
	v_fma_f32 v20, -v5, v19, v18
	v_fmac_f32_e32 v19, v20, v9
	v_fma_f32 v5, -v5, v19, v18
	v_div_fmas_f32 v5, v5, v9, v19
	v_div_fixup_f32 v18, v5, v17, v16
	v_fmac_f32_e32 v17, v16, v18
	v_div_scale_f32 v5, s[58:59], v17, v17, 1.0
	v_rcp_f32_e32 v9, v5
	s_nop 0
	v_fma_f32 v16, -v5, v9, 1.0
	v_fmac_f32_e32 v9, v16, v9
	v_div_scale_f32 v16, vcc, 1.0, v17, 1.0
	v_mul_f32_e32 v19, v16, v9
	v_fma_f32 v20, -v5, v19, v16
	v_fmac_f32_e32 v19, v20, v9
	v_fma_f32 v5, -v5, v19, v16
	v_div_fmas_f32 v5, v5, v9, v19
	s_waitcnt lgkmcnt(0)
	v_pk_fma_f32 v[20:21], v[18:19], v[14:15], v[14:15] op_sel:[0,0,1] op_sel_hi:[1,1,0]
	v_pk_fma_f32 v[14:15], v[18:19], v[14:15], v[14:15] op_sel:[0,0,1] op_sel_hi:[0,1,0] neg_lo:[0,0,1] neg_hi:[0,0,1]
	v_div_fixup_f32 v16, v5, v17, 1.0
	v_mov_b32_e32 v21, v15
	v_pk_mul_f32 v[18:19], v[16:17], v[20:21] op_sel_hi:[0,1]
                                        ; implicit-def: $vgpr16_vgpr17
                                        ; implicit-def: $vgpr14_vgpr15
.LBB4_104:                              ;   in Loop: Header=BB4_101 Depth=2
	s_andn2_saveexec_b64 s[56:57], s[56:57]
	s_cbranch_execz .LBB4_106
; %bb.105:                              ;   in Loop: Header=BB4_101 Depth=2
	v_div_scale_f32 v5, s[58:59], v16, v16, v17
	v_rcp_f32_e32 v9, v5
	v_div_scale_f32 v18, vcc, v17, v16, v17
	v_fma_f32 v19, -v5, v9, 1.0
	v_fmac_f32_e32 v9, v19, v9
	v_mul_f32_e32 v19, v18, v9
	v_fma_f32 v20, -v5, v19, v18
	v_fmac_f32_e32 v19, v20, v9
	v_fma_f32 v5, -v5, v19, v18
	v_div_fmas_f32 v5, v5, v9, v19
	v_div_fixup_f32 v18, v5, v16, v17
	v_fmac_f32_e32 v16, v17, v18
	v_div_scale_f32 v5, s[58:59], v16, v16, 1.0
	v_rcp_f32_e32 v9, v5
	s_nop 0
	v_fma_f32 v17, -v5, v9, 1.0
	v_fmac_f32_e32 v9, v17, v9
	v_div_scale_f32 v17, vcc, 1.0, v16, 1.0
	v_mul_f32_e32 v19, v17, v9
	v_fma_f32 v20, -v5, v19, v17
	v_fmac_f32_e32 v19, v20, v9
	v_fma_f32 v5, -v5, v19, v17
	v_div_fmas_f32 v5, v5, v9, v19
	s_waitcnt lgkmcnt(0)
	v_pk_fma_f32 v[20:21], v[18:19], v[14:15], v[14:15] op_sel:[0,1,0] op_sel_hi:[1,0,1]
	v_pk_fma_f32 v[14:15], v[18:19], v[14:15], v[14:15] op_sel:[0,1,0] op_sel_hi:[0,0,1] neg_lo:[1,0,0] neg_hi:[1,0,0]
	v_div_fixup_f32 v16, v5, v16, 1.0
	v_mov_b32_e32 v21, v15
	v_pk_mul_f32 v[18:19], v[16:17], v[20:21] op_sel_hi:[0,1]
.LBB4_106:                              ;   in Loop: Header=BB4_101 Depth=2
	s_or_b64 exec, exec, s[56:57]
	ds_write_b64 v2, v[18:19]
.LBB4_107:                              ;   in Loop: Header=BB4_101 Depth=2
	s_or_b64 exec, exec, s[54:55]
	v_cmp_lt_u32_e32 vcc, s46, v0
	s_waitcnt lgkmcnt(0)
	s_barrier
	s_and_saveexec_b64 s[54:55], vcc
	s_cbranch_execz .LBB4_100
; %bb.108:                              ;   in Loop: Header=BB4_101 Depth=2
	s_add_i32 s56, s44, s46
	s_cmp_lt_i32 s56, s13
	s_cselect_b64 s[56:57], -1, 0
	s_and_b64 s[56:57], s[48:49], s[56:57]
	s_and_b64 exec, exec, s[56:57]
	s_cbranch_execz .LBB4_100
; %bb.109:                              ;   in Loop: Header=BB4_101 Depth=2
	s_lshl_b64 s[56:57], s[50:51], 2
	s_and_b32 s56, s56, -8
	v_lshl_add_u64 v[14:15], v[12:13], 0, s[56:57]
	global_load_dwordx2 v[14:15], v[14:15], off
	v_mov_b32_e32 v5, s33
	ds_read_b64 v[16:17], v5
	ds_read_b64 v[18:19], v2
	s_waitcnt vmcnt(0) lgkmcnt(1)
	v_pk_mul_f32 v[20:21], v[16:17], v[14:15] op_sel:[1,1] op_sel_hi:[0,1]
	v_pk_fma_f32 v[22:23], v[16:17], v[14:15], v[20:21] neg_lo:[0,0,1] neg_hi:[0,0,1]
	v_pk_fma_f32 v[14:15], v[16:17], v[14:15], v[20:21] op_sel_hi:[1,0,1]
	s_nop 0
	v_mov_b32_e32 v23, v15
	s_waitcnt lgkmcnt(0)
	v_pk_add_f32 v[14:15], v[18:19], v[22:23] neg_lo:[0,1] neg_hi:[0,1]
	ds_write_b64 v2, v[14:15]
	s_branch .LBB4_100
.LBB4_110:                              ;   in Loop: Header=BB4_97 Depth=1
	s_add_u32 s2, s44, 0x200
	s_addc_u32 s3, s45, 0
	s_cmp_ge_i32 s2, s13
	s_cselect_b64 s[46:47], -1, 0
	s_and_b64 vcc, exec, s[46:47]
	s_waitcnt lgkmcnt(0)
	s_barrier
	s_cbranch_vccnz .LBB4_129
; %bb.111:                              ;   in Loop: Header=BB4_97 Depth=1
	v_ashrrev_i32_e32 v9, 31, v8
	v_lshl_add_u64 v[10:11], s[38:39], 0, v[8:9]
	v_lshlrev_b64 v[12:13], 3, v[10:11]
	s_mov_b32 s33, s2
	v_lshl_add_u64 v[10:11], s[18:19], 0, v[12:13]
	v_lshl_add_u64 v[12:13], s[16:17], 0, v[12:13]
	s_mov_b64 s[48:49], 0
	v_mov_b64_e32 v[14:15], v[0:1]
                                        ; implicit-def: $sgpr50_sgpr51
	s_branch .LBB4_114
.LBB4_112:                              ;   in Loop: Header=BB4_114 Depth=2
	v_mad_u64_u32 v[18:19], s[54:55], s6, v9, 0
	v_mov_b32_e32 v20, v19
	v_mad_u64_u32 v[20:21], s[54:55], s7, v9, v[20:21]
	v_mov_b32_e32 v19, v20
	v_lshl_add_u64 v[18:19], v[18:19], 3, s[4:5]
	global_load_dwordx2 v[20:21], v[18:19], off
	s_addk_i32 s33, 0x200
	s_cmp_ge_i32 s33, s13
	s_cselect_b64 s[54:55], -1, 0
	s_andn2_b64 s[50:51], s[50:51], exec
	s_and_b64 s[54:55], s[54:55], exec
	v_lshl_add_u64 v[10:11], v[10:11], 0, s[34:35]
	v_lshl_add_u64 v[12:13], v[12:13], 0, s[34:35]
	s_or_b64 s[50:51], s[50:51], s[54:55]
	s_waitcnt vmcnt(0)
	v_pk_add_f32 v[16:17], v[20:21], v[16:17] neg_lo:[0,1] neg_hi:[0,1]
	global_store_dwordx2 v[18:19], v[16:17], off
.LBB4_113:                              ;   in Loop: Header=BB4_114 Depth=2
	s_or_b64 exec, exec, s[52:53]
	s_and_b64 s[52:53], exec, s[50:51]
	s_or_b64 s[48:49], s[52:53], s[48:49]
	s_andn2_b64 exec, exec, s[48:49]
	s_cbranch_execz .LBB4_128
.LBB4_114:                              ;   Parent Loop BB4_97 Depth=1
                                        ; =>  This Loop Header: Depth=2
                                        ;       Child Loop BB4_116 Depth 3
	v_add_u32_e32 v9, s33, v0
	v_cmp_gt_i32_e32 vcc, s13, v9
	s_or_b64 s[50:51], s[50:51], exec
	s_and_saveexec_b64 s[52:53], vcc
	s_cbranch_execz .LBB4_113
; %bb.115:                              ;   in Loop: Header=BB4_114 Depth=2
	v_mov_b32_e32 v5, v4
	v_lshl_add_u64 v[18:19], v[14:15], 0, s[30:31]
	v_lshl_add_u64 v[14:15], v[14:15], 0, s[28:29]
	s_mov_b64 s[54:55], 0
	s_mov_b32 s45, 0
	s_mov_b64 s[56:57], s[26:27]
	s_mov_b64 s[60:61], s[24:25]
	v_mov_b64_e32 v[20:21], v[12:13]
	s_mov_b64 s[58:59], s[20:21]
	s_mov_b64 s[62:63], s[22:23]
	v_mov_b64_e32 v[22:23], v[10:11]
	v_mov_b64_e32 v[16:17], v[4:5]
.LBB4_116:                              ;   Parent Loop BB4_97 Depth=1
                                        ;     Parent Loop BB4_114 Depth=2
                                        ; =>    This Inner Loop Header: Depth=3
	v_cmp_ne_u32_e32 vcc, s54, v14
	s_xor_b64 s[64:65], s[8:9], -1
	s_add_u32 s68, s44, s54
	s_or_b64 s[66:67], s[64:65], vcc
	s_and_saveexec_b64 s[70:71], s[66:67]
	s_xor_b64 s[66:67], exec, s[70:71]
	s_cbranch_execz .LBB4_119
; %bb.117:                              ;   in Loop: Header=BB4_116 Depth=3
	s_cmp_ge_i32 s68, s13
	s_cbranch_scc1 .LBB4_119
; %bb.118:                              ;   in Loop: Header=BB4_116 Depth=3
	s_lshl_b64 s[70:71], s[56:57], 2
	s_and_b32 s70, s70, -8
	v_lshl_add_u64 v[24:25], v[20:21], 0, s[70:71]
	global_load_dwordx2 v[24:25], v[24:25], off
	v_mov_b32_e32 v5, s45
	ds_read_b64 v[26:27], v5
	s_waitcnt vmcnt(0) lgkmcnt(0)
	v_pk_mul_f32 v[28:29], v[26:27], v[24:25] op_sel:[1,1] op_sel_hi:[0,1]
	v_pk_fma_f32 v[30:31], v[26:27], v[24:25], v[28:29] neg_lo:[0,0,1] neg_hi:[0,0,1]
	v_pk_fma_f32 v[24:25], v[26:27], v[24:25], v[28:29] op_sel_hi:[1,0,1]
	s_nop 0
	v_mov_b32_e32 v31, v25
	v_pk_add_f32 v[16:17], v[16:17], v[30:31]
.LBB4_119:                              ;   in Loop: Header=BB4_116 Depth=3
	s_andn2_saveexec_b64 s[66:67], s[66:67]
	s_cbranch_execz .LBB4_121
; %bb.120:                              ;   in Loop: Header=BB4_116 Depth=3
	v_mov_b32_e32 v5, s45
	ds_read_b64 v[24:25], v5
	s_waitcnt lgkmcnt(0)
	v_pk_add_f32 v[16:17], v[16:17], v[24:25]
.LBB4_121:                              ;   in Loop: Header=BB4_116 Depth=3
	s_or_b64 exec, exec, s[66:67]
	v_cmp_ne_u32_e32 vcc, s54, v18
	s_or_b64 s[64:65], s[64:65], vcc
	s_and_saveexec_b64 s[66:67], s[64:65]
	s_xor_b64 s[64:65], exec, s[66:67]
	s_cbranch_execz .LBB4_124
; %bb.122:                              ;   in Loop: Header=BB4_116 Depth=3
	s_add_i32 s68, s68, 1
	s_cmp_ge_i32 s68, s13
	s_cbranch_scc1 .LBB4_124
; %bb.123:                              ;   in Loop: Header=BB4_116 Depth=3
	s_lshl_b64 s[66:67], s[58:59], 2
	s_and_b32 s66, s66, -8
	v_lshl_add_u64 v[24:25], v[22:23], 0, s[66:67]
	global_load_dwordx2 v[24:25], v[24:25], off
	v_mov_b32_e32 v5, s45
	ds_read_b64 v[26:27], v5 offset:8
	s_waitcnt vmcnt(0) lgkmcnt(0)
	v_pk_mul_f32 v[28:29], v[26:27], v[24:25] op_sel:[1,1] op_sel_hi:[0,1]
	v_pk_fma_f32 v[30:31], v[26:27], v[24:25], v[28:29] neg_lo:[0,0,1] neg_hi:[0,0,1]
	v_pk_fma_f32 v[24:25], v[26:27], v[24:25], v[28:29] op_sel_hi:[1,0,1]
	s_nop 0
	v_mov_b32_e32 v31, v25
	v_pk_add_f32 v[16:17], v[16:17], v[30:31]
.LBB4_124:                              ;   in Loop: Header=BB4_116 Depth=3
	s_andn2_saveexec_b64 s[64:65], s[64:65]
	s_cbranch_execz .LBB4_126
; %bb.125:                              ;   in Loop: Header=BB4_116 Depth=3
	v_mov_b32_e32 v5, s45
	ds_read_b64 v[24:25], v5 offset:8
	s_waitcnt lgkmcnt(0)
	v_pk_add_f32 v[16:17], v[16:17], v[24:25]
.LBB4_126:                              ;   in Loop: Header=BB4_116 Depth=3
	s_or_b64 exec, exec, s[64:65]
	s_add_u32 s54, s54, 2
	s_addc_u32 s55, s55, 0
	s_add_i32 s45, s45, 16
	s_add_u32 s64, s62, -8
	s_addc_u32 s65, s63, -1
	s_add_u32 s58, s58, s62
	s_addc_u32 s59, s59, s63
	s_add_u32 s62, s60, -8
	s_addc_u32 s63, s61, -1
	s_add_u32 s56, s56, s60
	s_addc_u32 s57, s57, s61
	v_lshl_add_u64 v[22:23], v[22:23], 0, -16
	s_cmpk_eq_i32 s54, 0x200
	v_lshl_add_u64 v[20:21], v[20:21], 0, -16
	s_cbranch_scc1 .LBB4_112
; %bb.127:                              ;   in Loop: Header=BB4_116 Depth=3
	s_mov_b64 s[60:61], s[62:63]
	s_mov_b64 s[62:63], s[64:65]
	s_branch .LBB4_116
.LBB4_128:                              ;   in Loop: Header=BB4_97 Depth=1
	s_or_b64 exec, exec, s[48:49]
.LBB4_129:                              ;   in Loop: Header=BB4_97 Depth=1
	s_and_saveexec_b64 s[44:45], s[0:1]
	s_cbranch_execz .LBB4_96
; %bb.130:                              ;   in Loop: Header=BB4_97 Depth=1
	v_mad_u64_u32 v[10:11], s[0:1], s6, v3, 0
	ds_read_b64 v[14:15], v2
	v_mov_b32_e32 v12, v11
	v_mad_u64_u32 v[12:13], s[0:1], s7, v3, v[12:13]
	v_mov_b32_e32 v11, v12
	v_lshl_add_u64 v[10:11], v[10:11], 3, s[4:5]
	s_waitcnt lgkmcnt(0)
	global_store_dwordx2 v[10:11], v[14:15], off
	s_branch .LBB4_96
.LBB4_131:
	s_mov_b64 s[0:1], 0
.LBB4_132:
	s_andn2_b64 vcc, exec, s[0:1]
	s_cbranch_vccnz .LBB4_166
; %bb.133:
	s_andn2_b64 vcc, exec, s[14:15]
	s_cbranch_vccnz .LBB4_166
; %bb.134:
	v_mov_b32_e32 v1, 0x2000
	v_mov_b32_e32 v3, 0
	s_movk_i32 s18, 0xfe00
	s_add_i32 s37, s13, 0xfffffe00
	v_lshl_or_b32 v22, v0, 3, v1
	s_mov_b32 s33, 0
	s_mov_b32 s36, s13
	v_mov_b32_e32 v1, v3
	s_mov_b64 s[12:13], 0xfffffdff
	s_mov_b64 s[14:15], 0xfffffe00
	s_xor_b64 s[16:17], s[8:9], -1
	s_mov_b32 s19, -1
	s_branch .LBB4_136
.LBB4_135:                              ;   in Loop: Header=BB4_136 Depth=1
	s_or_b64 exec, exec, s[20:21]
	s_add_u32 s36, s36, 0xfffffe00
	s_addc_u32 s33, s33, -1
	s_and_b64 vcc, exec, s[2:3]
	s_mov_b32 s37, s38
	s_barrier
	s_cbranch_vccnz .LBB4_166
.LBB4_136:                              ; =>This Loop Header: Depth=1
                                        ;     Child Loop BB4_140 Depth 2
                                        ;     Child Loop BB4_152 Depth 2
                                        ;       Child Loop BB4_155 Depth 3
	v_add_u32_e32 v4, s37, v0
	v_cmp_gt_i32_e32 vcc, 0, v4
	v_cmp_lt_i32_e64 s[0:1], -1, v4
	v_mov_b32_e32 v5, v3
	s_and_saveexec_b64 s[2:3], s[0:1]
	s_cbranch_execz .LBB4_138
; %bb.137:                              ;   in Loop: Header=BB4_136 Depth=1
	v_mad_u64_u32 v[6:7], s[20:21], s6, v4, 0
	v_mov_b32_e32 v2, v7
	v_mad_u64_u32 v[8:9], s[20:21], s7, v4, v[2:3]
	v_mov_b32_e32 v7, v8
	v_lshl_add_u64 v[6:7], v[6:7], 3, s[4:5]
	global_load_dwordx2 v[6:7], v[6:7], off
	s_waitcnt vmcnt(0)
	ds_write_b64 v22, v[6:7]
.LBB4_138:                              ;   in Loop: Header=BB4_136 Depth=1
	s_or_b64 exec, exec, s[2:3]
	v_add_u32_e32 v2, 1, v4
	v_mad_u64_u32 v[8:9], s[2:3], v4, v2, 0
	v_lshlrev_b64 v[8:9], 2, v[8:9]
	v_ashrrev_i32_e32 v7, 31, v4
	v_mov_b32_e32 v6, v4
	v_lshl_add_u64 v[10:11], v[4:5], 3, s[10:11]
	v_and_b32_e32 v8, -8, v8
	s_or_b64 s[2:3], s[8:9], vcc
	v_lshl_add_u64 v[6:7], v[6:7], 3, s[10:11]
	v_lshl_add_u64 v[8:9], v[10:11], 0, v[8:9]
	s_movk_i32 s24, 0x1ff
	s_movk_i32 s25, 0x2ff8
	s_xor_b64 s[20:21], s[2:3], -1
	s_waitcnt lgkmcnt(0)
	s_barrier
	s_branch .LBB4_140
.LBB4_139:                              ;   in Loop: Header=BB4_140 Depth=2
	s_or_b64 exec, exec, s[2:3]
	s_add_i32 s24, s24, -1
	s_add_i32 s25, s25, -8
	s_cmp_eq_u32 s24, -1
	s_cbranch_scc1 .LBB4_148
.LBB4_140:                              ;   Parent Loop BB4_136 Depth=1
                                        ; =>  This Inner Loop Header: Depth=2
	v_cmp_eq_u32_e32 vcc, s24, v0
	s_and_b64 s[22:23], vcc, s[20:21]
	s_and_saveexec_b64 s[2:3], s[22:23]
	s_cbranch_execz .LBB4_146
; %bb.141:                              ;   in Loop: Header=BB4_140 Depth=2
	global_load_dwordx2 v[12:13], v[8:9], off
	ds_read_b64 v[10:11], v22
                                        ; implicit-def: $vgpr14_vgpr15
	s_waitcnt vmcnt(0)
	v_cmp_ngt_f32_e64 s[22:23], |v12|, |v13|
	s_and_saveexec_b64 s[26:27], s[22:23]
	s_xor_b64 s[22:23], exec, s[26:27]
	s_cbranch_execz .LBB4_143
; %bb.142:                              ;   in Loop: Header=BB4_140 Depth=2
	v_div_scale_f32 v2, s[26:27], v13, v13, v12
	v_rcp_f32_e32 v5, v2
	v_div_scale_f32 v14, vcc, v12, v13, v12
	v_fma_f32 v15, -v2, v5, 1.0
	v_fmac_f32_e32 v5, v15, v5
	v_mul_f32_e32 v15, v14, v5
	v_fma_f32 v16, -v2, v15, v14
	v_fmac_f32_e32 v15, v16, v5
	v_fma_f32 v2, -v2, v15, v14
	v_div_fmas_f32 v2, v2, v5, v15
	v_div_fixup_f32 v2, v2, v13, v12
	v_fmac_f32_e32 v13, v12, v2
	v_div_scale_f32 v5, s[26:27], v13, v13, 1.0
	v_rcp_f32_e32 v12, v5
	s_nop 0
	v_fma_f32 v14, -v5, v12, 1.0
	v_fmac_f32_e32 v12, v14, v12
	v_div_scale_f32 v14, vcc, 1.0, v13, 1.0
	v_mul_f32_e32 v15, v14, v12
	v_fma_f32 v16, -v5, v15, v14
	v_fmac_f32_e32 v15, v16, v12
	v_fma_f32 v5, -v5, v15, v14
	v_div_fmas_f32 v5, v5, v12, v15
	s_waitcnt lgkmcnt(0)
	v_pk_fma_f32 v[14:15], v[2:3], v[10:11], v[10:11] op_sel:[0,0,1] op_sel_hi:[1,1,0]
	v_pk_fma_f32 v[10:11], v[2:3], v[10:11], v[10:11] op_sel:[0,0,1] op_sel_hi:[0,1,0] neg_lo:[0,0,1] neg_hi:[0,0,1]
	v_div_fixup_f32 v12, v5, v13, 1.0
	v_mov_b32_e32 v15, v11
	v_pk_mul_f32 v[14:15], v[12:13], v[14:15] op_sel_hi:[0,1]
                                        ; implicit-def: $vgpr12_vgpr13
                                        ; implicit-def: $vgpr10_vgpr11
.LBB4_143:                              ;   in Loop: Header=BB4_140 Depth=2
	s_andn2_saveexec_b64 s[22:23], s[22:23]
	s_cbranch_execz .LBB4_145
; %bb.144:                              ;   in Loop: Header=BB4_140 Depth=2
	v_div_scale_f32 v2, s[26:27], v12, v12, v13
	v_rcp_f32_e32 v5, v2
	v_div_scale_f32 v14, vcc, v13, v12, v13
	v_fma_f32 v15, -v2, v5, 1.0
	v_fmac_f32_e32 v5, v15, v5
	v_mul_f32_e32 v15, v14, v5
	v_fma_f32 v16, -v2, v15, v14
	v_fmac_f32_e32 v15, v16, v5
	v_fma_f32 v2, -v2, v15, v14
	v_div_fmas_f32 v2, v2, v5, v15
	v_div_fixup_f32 v2, v2, v12, v13
	v_fmac_f32_e32 v12, v13, v2
	v_div_scale_f32 v5, s[26:27], v12, v12, 1.0
	v_rcp_f32_e32 v13, v5
	s_nop 0
	v_fma_f32 v14, -v5, v13, 1.0
	v_fmac_f32_e32 v13, v14, v13
	v_div_scale_f32 v14, vcc, 1.0, v12, 1.0
	v_mul_f32_e32 v15, v14, v13
	v_fma_f32 v16, -v5, v15, v14
	v_fmac_f32_e32 v15, v16, v13
	v_fma_f32 v5, -v5, v15, v14
	v_div_fmas_f32 v5, v5, v13, v15
	s_waitcnt lgkmcnt(0)
	v_pk_fma_f32 v[14:15], v[2:3], v[10:11], v[10:11] op_sel:[0,1,0] op_sel_hi:[1,0,1]
	v_pk_fma_f32 v[10:11], v[2:3], v[10:11], v[10:11] op_sel:[0,1,0] op_sel_hi:[0,0,1] neg_lo:[1,0,0] neg_hi:[1,0,0]
	v_div_fixup_f32 v12, v5, v12, 1.0
	v_mov_b32_e32 v15, v11
	v_pk_mul_f32 v[14:15], v[12:13], v[14:15] op_sel_hi:[0,1]
.LBB4_145:                              ;   in Loop: Header=BB4_140 Depth=2
	s_or_b64 exec, exec, s[22:23]
	ds_write_b64 v22, v[14:15]
.LBB4_146:                              ;   in Loop: Header=BB4_140 Depth=2
	s_or_b64 exec, exec, s[2:3]
	s_add_i32 s23, s36, s24
	s_add_i32 s22, s23, 0xfffffe00
	v_or_b32_e32 v2, s22, v4
	v_cmp_gt_u32_e32 vcc, s24, v0
	v_cmp_lt_i32_e64 s[2:3], -1, v2
	s_and_b64 s[26:27], vcc, s[2:3]
	s_waitcnt lgkmcnt(0)
	s_barrier
	s_and_saveexec_b64 s[2:3], s[26:27]
	s_cbranch_execz .LBB4_139
; %bb.147:                              ;   in Loop: Header=BB4_140 Depth=2
	s_add_i32 s26, s23, 0xfffffe01
	s_mul_hi_u32 s23, s26, s22
	s_mul_i32 s22, s26, s22
	s_lshl_b64 s[22:23], s[22:23], 2
	s_and_b32 s22, s22, -8
	v_lshl_add_u64 v[10:11], v[6:7], 0, s[22:23]
	global_load_dwordx2 v[10:11], v[10:11], off
	v_mov_b32_e32 v2, s25
	ds_read_b64 v[12:13], v2
	ds_read_b64 v[14:15], v22
	s_waitcnt vmcnt(0) lgkmcnt(1)
	v_pk_mul_f32 v[16:17], v[12:13], v[10:11] op_sel:[1,1] op_sel_hi:[0,1]
	v_pk_fma_f32 v[18:19], v[12:13], v[10:11], v[16:17] neg_lo:[0,0,1] neg_hi:[0,0,1]
	v_pk_fma_f32 v[10:11], v[12:13], v[10:11], v[16:17] op_sel_hi:[1,0,1]
	s_nop 0
	v_mov_b32_e32 v19, v11
	s_waitcnt lgkmcnt(0)
	v_pk_add_f32 v[10:11], v[14:15], v[18:19] neg_lo:[0,1] neg_hi:[0,1]
	ds_write_b64 v22, v[10:11]
	s_branch .LBB4_139
.LBB4_148:                              ;   in Loop: Header=BB4_136 Depth=1
	s_add_i32 s38, s37, 0xfffffe00
	s_cmp_lt_i32 s37, 1
	s_cselect_b64 s[2:3], -1, 0
	s_and_b64 vcc, exec, s[2:3]
	s_waitcnt lgkmcnt(0)
	s_barrier
	s_cbranch_vccnz .LBB4_164
; %bb.149:                              ;   in Loop: Header=BB4_136 Depth=1
	s_mov_b64 s[20:21], 0
	v_mov_b64_e32 v[6:7], v[0:1]
	s_mov_b32 s39, s38
                                        ; implicit-def: $sgpr22_sgpr23
	s_branch .LBB4_152
.LBB4_150:                              ;   in Loop: Header=BB4_152 Depth=2
	v_mad_u64_u32 v[10:11], s[26:27], s6, v2, 0
	v_mov_b32_e32 v12, v11
	v_mad_u64_u32 v[12:13], s[26:27], s7, v2, v[12:13]
	v_mov_b32_e32 v11, v12
	v_lshl_add_u64 v[10:11], v[10:11], 3, s[4:5]
	global_load_dwordx2 v[12:13], v[10:11], off
	s_add_i32 s28, s39, 0xfffffe00
	s_cmp_lt_i32 s39, 1
	s_cselect_b64 s[26:27], -1, 0
	s_andn2_b64 s[22:23], s[22:23], exec
	s_and_b64 s[26:27], s[26:27], exec
	v_lshl_add_u64 v[6:7], v[6:7], 0, s[18:19]
	s_or_b64 s[22:23], s[22:23], s[26:27]
	s_mov_b32 s39, s28
	s_waitcnt vmcnt(0)
	v_pk_add_f32 v[8:9], v[12:13], v[8:9] neg_lo:[0,1] neg_hi:[0,1]
	global_store_dwordx2 v[10:11], v[8:9], off
.LBB4_151:                              ;   in Loop: Header=BB4_152 Depth=2
	s_or_b64 exec, exec, s[24:25]
	s_and_b64 s[24:25], exec, s[22:23]
	s_or_b64 s[20:21], s[24:25], s[20:21]
	s_andn2_b64 exec, exec, s[20:21]
	s_cbranch_execz .LBB4_163
.LBB4_152:                              ;   Parent Loop BB4_136 Depth=1
                                        ; =>  This Loop Header: Depth=2
                                        ;       Child Loop BB4_155 Depth 3
	v_add_u32_e32 v2, s39, v0
	v_cmp_lt_i32_e32 vcc, -1, v2
	s_or_b64 s[22:23], s[22:23], exec
	s_and_saveexec_b64 s[24:25], vcc
	s_cbranch_execz .LBB4_151
; %bb.153:                              ;   in Loop: Header=BB4_152 Depth=2
	v_mov_b32_e32 v8, 0
	v_lshl_add_u64 v[10:11], v[2:3], 3, s[10:11]
	v_lshl_add_u64 v[12:13], v[6:7], 0, s[12:13]
	;; [unrolled: 1-line block ×3, first 2 shown]
	s_movk_i32 s40, 0x2000
	s_mov_b64 s[26:27], 0
	v_mov_b32_e32 v9, v8
	s_branch .LBB4_155
.LBB4_154:                              ;   in Loop: Header=BB4_155 Depth=3
	s_or_b64 exec, exec, s[28:29]
	s_add_i32 s40, s40, 16
	s_add_u32 s26, s26, 2
	s_waitcnt lgkmcnt(0)
	v_pk_add_f32 v[8:9], v[8:9], v[16:17]
	s_addc_u32 s27, s27, 0
	s_cmpk_eq_i32 s26, 0x200
	v_pk_add_f32 v[8:9], v[8:9], v[18:19]
	s_cbranch_scc1 .LBB4_150
.LBB4_155:                              ;   Parent Loop BB4_136 Depth=1
                                        ;     Parent Loop BB4_152 Depth=2
                                        ; =>    This Inner Loop Header: Depth=3
	v_cmp_ne_u32_e32 vcc, s26, v14
	s_or_b64 s[34:35], s[16:17], vcc
                                        ; implicit-def: $vgpr17
                                        ; implicit-def: $sgpr28_sgpr29
                                        ; implicit-def: $sgpr30_sgpr31
	s_and_saveexec_b64 s[42:43], s[34:35]
	s_xor_b64 s[34:35], exec, s[42:43]
	s_cbranch_execz .LBB4_157
; %bb.156:                              ;   in Loop: Header=BB4_155 Depth=3
	s_add_u32 s28, s36, s26
	s_addc_u32 s29, s33, s27
	s_add_u32 s30, s28, 0xfffffe01
	s_addc_u32 s31, s29, 0
	;; [unrolled: 2-line block ×3, first 2 shown]
	s_mul_i32 s42, s30, s42
	s_mul_hi_u32 s43, s30, s41
	s_add_i32 s43, s43, s42
	s_mul_i32 s42, s30, s41
	s_lshl_b64 s[42:43], s[42:43], 2
	s_and_b32 s42, s42, -8
	v_lshl_add_u64 v[16:17], v[10:11], 0, s[42:43]
	global_load_dwordx2 v[16:17], v[16:17], off
	v_mov_b32_e32 v5, s40
	ds_read_b64 v[18:19], v5
	s_waitcnt vmcnt(0) lgkmcnt(0)
	v_pk_mul_f32 v[20:21], v[18:19], v[16:17] op_sel:[1,1] op_sel_hi:[0,1]
	v_pk_mul_f32 v[24:25], v[18:19], v[16:17] op_sel_hi:[1,0]
	v_pk_fma_f32 v[16:17], v[18:19], v[16:17], v[20:21] op_sel_hi:[1,0,1]
	s_nop 0
	v_sub_f32_e32 v16, v24, v20
.LBB4_157:                              ;   in Loop: Header=BB4_155 Depth=3
	s_or_saveexec_b64 s[34:35], s[34:35]
	v_mov_b64_e32 v[18:19], s[30:31]
	v_mov_b64_e32 v[20:21], s[28:29]
	s_xor_b64 exec, exec, s[34:35]
	s_cbranch_execz .LBB4_159
; %bb.158:                              ;   in Loop: Header=BB4_155 Depth=3
	v_mov_b32_e32 v5, s40
	ds_read_b64 v[16:17], v5
	s_add_u32 s28, s36, s26
	s_addc_u32 s29, s33, s27
	s_add_u32 s30, s28, 0xfffffe01
	s_addc_u32 s31, s29, 0
	v_mov_b64_e32 v[18:19], s[30:31]
	v_mov_b64_e32 v[20:21], s[28:29]
.LBB4_159:                              ;   in Loop: Header=BB4_155 Depth=3
	s_or_b64 exec, exec, s[34:35]
	v_cmp_ne_u32_e32 vcc, s26, v12
	s_or_b64 s[28:29], s[16:17], vcc
                                        ; implicit-def: $vgpr19
	s_and_saveexec_b64 s[30:31], s[28:29]
	s_xor_b64 s[28:29], exec, s[30:31]
	s_cbranch_execz .LBB4_161
; %bb.160:                              ;   in Loop: Header=BB4_155 Depth=3
	v_add_u32_e32 v5, 0xfffffe02, v20
	v_mad_u64_u32 v[18:19], s[30:31], v5, v18, 0
	v_lshlrev_b64 v[18:19], 2, v[18:19]
	v_and_b32_e32 v18, -8, v18
	v_lshl_add_u64 v[18:19], v[10:11], 0, v[18:19]
	global_load_dwordx2 v[18:19], v[18:19], off
	v_mov_b32_e32 v5, s40
	ds_read_b64 v[20:21], v5 offset:8
	s_waitcnt vmcnt(0) lgkmcnt(0)
	v_pk_mul_f32 v[24:25], v[20:21], v[18:19] op_sel:[1,1] op_sel_hi:[0,1]
	v_pk_mul_f32 v[26:27], v[20:21], v[18:19] op_sel_hi:[1,0]
	v_pk_fma_f32 v[18:19], v[20:21], v[18:19], v[24:25] op_sel_hi:[1,0,1]
	s_nop 0
	v_sub_f32_e32 v18, v26, v24
.LBB4_161:                              ;   in Loop: Header=BB4_155 Depth=3
	s_andn2_saveexec_b64 s[28:29], s[28:29]
	s_cbranch_execz .LBB4_154
; %bb.162:                              ;   in Loop: Header=BB4_155 Depth=3
	v_mov_b32_e32 v5, s40
	ds_read_b64 v[18:19], v5 offset:8
	s_branch .LBB4_154
.LBB4_163:                              ;   in Loop: Header=BB4_136 Depth=1
	s_or_b64 exec, exec, s[20:21]
.LBB4_164:                              ;   in Loop: Header=BB4_136 Depth=1
	s_and_saveexec_b64 s[20:21], s[0:1]
	s_cbranch_execz .LBB4_135
; %bb.165:                              ;   in Loop: Header=BB4_136 Depth=1
	v_mad_u64_u32 v[6:7], s[0:1], s6, v4, 0
	ds_read_b64 v[8:9], v22
	v_mov_b32_e32 v2, v7
	v_mad_u64_u32 v[4:5], s[0:1], s7, v4, v[2:3]
	v_mov_b32_e32 v7, v4
	v_lshl_add_u64 v[4:5], v[6:7], 3, s[4:5]
	s_waitcnt lgkmcnt(0)
	global_store_dwordx2 v[4:5], v[8:9], off
	s_branch .LBB4_135
.LBB4_166:
	s_endpgm
	.section	.rodata,"a",@progbits
	.p2align	6, 0x0
	.amdhsa_kernel _ZL19rocblas_tpsv_kernelILb1ELi512EPK19rocblas_complex_numIfEPS1_Ev18rocblas_operation_bbiT1_llT2_lll
		.amdhsa_group_segment_fixed_size 16384
		.amdhsa_private_segment_fixed_size 0
		.amdhsa_kernarg_size 72
		.amdhsa_user_sgpr_count 2
		.amdhsa_user_sgpr_dispatch_ptr 0
		.amdhsa_user_sgpr_queue_ptr 0
		.amdhsa_user_sgpr_kernarg_segment_ptr 1
		.amdhsa_user_sgpr_dispatch_id 0
		.amdhsa_user_sgpr_kernarg_preload_length 0
		.amdhsa_user_sgpr_kernarg_preload_offset 0
		.amdhsa_user_sgpr_private_segment_size 0
		.amdhsa_uses_dynamic_stack 0
		.amdhsa_enable_private_segment 0
		.amdhsa_system_sgpr_workgroup_id_x 1
		.amdhsa_system_sgpr_workgroup_id_y 0
		.amdhsa_system_sgpr_workgroup_id_z 0
		.amdhsa_system_sgpr_workgroup_info 0
		.amdhsa_system_vgpr_workitem_id 0
		.amdhsa_next_free_vgpr 34
		.amdhsa_next_free_sgpr 72
		.amdhsa_accum_offset 36
		.amdhsa_reserve_vcc 1
		.amdhsa_float_round_mode_32 0
		.amdhsa_float_round_mode_16_64 0
		.amdhsa_float_denorm_mode_32 3
		.amdhsa_float_denorm_mode_16_64 3
		.amdhsa_dx10_clamp 1
		.amdhsa_ieee_mode 1
		.amdhsa_fp16_overflow 0
		.amdhsa_tg_split 0
		.amdhsa_exception_fp_ieee_invalid_op 0
		.amdhsa_exception_fp_denorm_src 0
		.amdhsa_exception_fp_ieee_div_zero 0
		.amdhsa_exception_fp_ieee_overflow 0
		.amdhsa_exception_fp_ieee_underflow 0
		.amdhsa_exception_fp_ieee_inexact 0
		.amdhsa_exception_int_div_zero 0
	.end_amdhsa_kernel
	.section	.text._ZL19rocblas_tpsv_kernelILb1ELi512EPK19rocblas_complex_numIfEPS1_Ev18rocblas_operation_bbiT1_llT2_lll,"axG",@progbits,_ZL19rocblas_tpsv_kernelILb1ELi512EPK19rocblas_complex_numIfEPS1_Ev18rocblas_operation_bbiT1_llT2_lll,comdat
.Lfunc_end4:
	.size	_ZL19rocblas_tpsv_kernelILb1ELi512EPK19rocblas_complex_numIfEPS1_Ev18rocblas_operation_bbiT1_llT2_lll, .Lfunc_end4-_ZL19rocblas_tpsv_kernelILb1ELi512EPK19rocblas_complex_numIfEPS1_Ev18rocblas_operation_bbiT1_llT2_lll
                                        ; -- End function
	.set _ZL19rocblas_tpsv_kernelILb1ELi512EPK19rocblas_complex_numIfEPS1_Ev18rocblas_operation_bbiT1_llT2_lll.num_vgpr, 34
	.set _ZL19rocblas_tpsv_kernelILb1ELi512EPK19rocblas_complex_numIfEPS1_Ev18rocblas_operation_bbiT1_llT2_lll.num_agpr, 0
	.set _ZL19rocblas_tpsv_kernelILb1ELi512EPK19rocblas_complex_numIfEPS1_Ev18rocblas_operation_bbiT1_llT2_lll.numbered_sgpr, 72
	.set _ZL19rocblas_tpsv_kernelILb1ELi512EPK19rocblas_complex_numIfEPS1_Ev18rocblas_operation_bbiT1_llT2_lll.num_named_barrier, 0
	.set _ZL19rocblas_tpsv_kernelILb1ELi512EPK19rocblas_complex_numIfEPS1_Ev18rocblas_operation_bbiT1_llT2_lll.private_seg_size, 0
	.set _ZL19rocblas_tpsv_kernelILb1ELi512EPK19rocblas_complex_numIfEPS1_Ev18rocblas_operation_bbiT1_llT2_lll.uses_vcc, 1
	.set _ZL19rocblas_tpsv_kernelILb1ELi512EPK19rocblas_complex_numIfEPS1_Ev18rocblas_operation_bbiT1_llT2_lll.uses_flat_scratch, 0
	.set _ZL19rocblas_tpsv_kernelILb1ELi512EPK19rocblas_complex_numIfEPS1_Ev18rocblas_operation_bbiT1_llT2_lll.has_dyn_sized_stack, 0
	.set _ZL19rocblas_tpsv_kernelILb1ELi512EPK19rocblas_complex_numIfEPS1_Ev18rocblas_operation_bbiT1_llT2_lll.has_recursion, 0
	.set _ZL19rocblas_tpsv_kernelILb1ELi512EPK19rocblas_complex_numIfEPS1_Ev18rocblas_operation_bbiT1_llT2_lll.has_indirect_call, 0
	.section	.AMDGPU.csdata,"",@progbits
; Kernel info:
; codeLenInByte = 7548
; TotalNumSgprs: 78
; NumVgprs: 34
; NumAgprs: 0
; TotalNumVgprs: 34
; ScratchSize: 0
; MemoryBound: 0
; FloatMode: 240
; IeeeMode: 1
; LDSByteSize: 16384 bytes/workgroup (compile time only)
; SGPRBlocks: 9
; VGPRBlocks: 4
; NumSGPRsForWavesPerEU: 78
; NumVGPRsForWavesPerEU: 34
; AccumOffset: 36
; Occupancy: 8
; WaveLimiterHint : 0
; COMPUTE_PGM_RSRC2:SCRATCH_EN: 0
; COMPUTE_PGM_RSRC2:USER_SGPR: 2
; COMPUTE_PGM_RSRC2:TRAP_HANDLER: 0
; COMPUTE_PGM_RSRC2:TGID_X_EN: 1
; COMPUTE_PGM_RSRC2:TGID_Y_EN: 0
; COMPUTE_PGM_RSRC2:TGID_Z_EN: 0
; COMPUTE_PGM_RSRC2:TIDIG_COMP_CNT: 0
; COMPUTE_PGM_RSRC3_GFX90A:ACCUM_OFFSET: 8
; COMPUTE_PGM_RSRC3_GFX90A:TG_SPLIT: 0
	.section	.text._ZL19rocblas_tpsv_kernelILb0ELi512EPK19rocblas_complex_numIfEPS1_Ev18rocblas_operation_bbiT1_llT2_lll,"axG",@progbits,_ZL19rocblas_tpsv_kernelILb0ELi512EPK19rocblas_complex_numIfEPS1_Ev18rocblas_operation_bbiT1_llT2_lll,comdat
	.globl	_ZL19rocblas_tpsv_kernelILb0ELi512EPK19rocblas_complex_numIfEPS1_Ev18rocblas_operation_bbiT1_llT2_lll ; -- Begin function _ZL19rocblas_tpsv_kernelILb0ELi512EPK19rocblas_complex_numIfEPS1_Ev18rocblas_operation_bbiT1_llT2_lll
	.p2align	8
	.type	_ZL19rocblas_tpsv_kernelILb0ELi512EPK19rocblas_complex_numIfEPS1_Ev18rocblas_operation_bbiT1_llT2_lll,@function
_ZL19rocblas_tpsv_kernelILb0ELi512EPK19rocblas_complex_numIfEPS1_Ev18rocblas_operation_bbiT1_llT2_lll: ; @_ZL19rocblas_tpsv_kernelILb0ELi512EPK19rocblas_complex_numIfEPS1_Ev18rocblas_operation_bbiT1_llT2_lll
; %bb.0:
	s_load_dwordx2 s[28:29], s[0:1], 0x0
	s_load_dwordx2 s[12:13], s[0:1], 0x4
	s_load_dwordx2 s[16:17], s[0:1], 0x10
	s_load_dwordx4 s[24:27], s[0:1], 0x18
	s_load_dwordx2 s[14:15], s[0:1], 0x28
	s_waitcnt lgkmcnt(0)
	s_bitcmp1_b32 s29, 0
	s_cselect_b64 s[4:5], -1, 0
	s_xor_b64 s[20:21], s[4:5], -1
	s_bitcmp1_b32 s12, 8
	s_load_dwordx4 s[4:7], s[0:1], 0x30
	s_load_dwordx2 s[30:31], s[0:1], 0x40
	s_mul_i32 s0, s27, s2
	s_mul_hi_u32 s1, s26, s2
	s_cselect_b64 s[8:9], -1, 0
	s_add_i32 s1, s1, s0
	s_mul_i32 s0, s26, s2
	s_lshl_b64 s[18:19], s[0:1], 3
	s_add_u32 s0, s16, s18
	s_addc_u32 s1, s17, s19
	s_lshl_b64 s[22:23], s[24:25], 3
	s_add_u32 s10, s0, s22
	s_addc_u32 s11, s1, s23
	s_waitcnt lgkmcnt(0)
	s_mul_i32 s0, s31, s2
	s_mul_hi_u32 s1, s30, s2
	s_add_i32 s1, s1, s0
	s_mul_i32 s0, s30, s2
	s_lshl_b64 s[0:1], s[0:1], 3
	s_add_u32 s2, s14, s0
	s_addc_u32 s3, s15, s1
	s_lshl_b64 s[0:1], s[4:5], 3
	s_add_u32 s4, s2, s0
	s_addc_u32 s5, s3, s1
	s_cmp_gt_i32 s13, 0
	s_cselect_b64 s[14:15], -1, 0
	s_cmpk_lg_i32 s28, 0x6f
	s_mov_b64 s[0:1], -1
	s_cbranch_scc0 .LBB5_92
; %bb.1:
	s_and_b64 vcc, exec, s[20:21]
	s_cbranch_vccz .LBB5_44
; %bb.2:
	s_andn2_b64 vcc, exec, s[14:15]
	s_cbranch_vccnz .LBB5_43
; %bb.3:
	s_lshl_b32 s2, s13, 1
	s_add_i32 s40, s13, 0xfffffe00
	s_or_b32 s12, s2, 1
	s_add_u32 s3, s18, s22
	s_addc_u32 s24, s19, s23
	s_ashr_i32 s1, s13, 31
	s_mov_b32 s0, s13
	s_lshl_b64 s[0:1], s[0:1], 3
	s_add_u32 s0, s3, s0
	s_addc_u32 s1, s24, s1
	s_add_u32 s0, s16, s0
	s_addc_u32 s1, s17, s1
	v_mov_b32_e32 v1, 0x1000
	s_add_u32 s24, s0, 0xfffff000
	v_add_u32_e32 v2, s13, v0
	v_lshl_or_b32 v1, v0, 3, v1
	v_sub_u32_e32 v20, 0, v0
	s_addc_u32 s25, s1, -1
	v_add_u32_e32 v21, 0xfffffc00, v2
	s_ashr_i32 s33, s2, 31
	v_mov_b32_e32 v3, 0
	s_movk_i32 s42, 0x400
	s_xor_b64 s[26:27], s[8:9], -1
	s_movk_i32 s43, 0x401
	s_movk_i32 s44, 0x402
	;; [unrolled: 1-line block ×3, first 2 shown]
	s_mov_b64 s[28:29], 0x1000
	s_mov_b64 s[30:31], 0x200
	s_branch .LBB5_5
.LBB5_4:                                ;   in Loop: Header=BB5_5 Depth=1
	s_or_b64 exec, exec, s[34:35]
	s_add_u32 s24, s24, 0xfffff000
	s_addc_u32 s25, s25, -1
	v_add_u32_e32 v21, 0xfffffe00, v21
	s_andn2_b64 vcc, exec, s[2:3]
	s_mov_b32 s40, s46
	s_barrier
	s_cbranch_vccz .LBB5_43
.LBB5_5:                                ; =>This Loop Header: Depth=1
                                        ;     Child Loop BB5_9 Depth 2
                                        ;     Child Loop BB5_21 Depth 2
                                        ;       Child Loop BB5_24 Depth 3
	v_add_u32_e32 v22, s40, v0
	v_cmp_gt_i32_e64 s[2:3], 0, v22
	v_cmp_lt_i32_e64 s[0:1], -1, v22
	s_and_saveexec_b64 s[34:35], s[0:1]
	s_cbranch_execz .LBB5_7
; %bb.6:                                ;   in Loop: Header=BB5_5 Depth=1
	v_mad_u64_u32 v[4:5], s[36:37], s6, v22, 0
	v_mov_b32_e32 v2, v5
	v_mad_u64_u32 v[6:7], s[36:37], s7, v22, v[2:3]
	v_mov_b32_e32 v5, v6
	v_lshl_add_u64 v[4:5], v[4:5], 3, s[4:5]
	global_load_dwordx2 v[4:5], v[4:5], off
	s_waitcnt vmcnt(0)
	ds_write_b64 v1, v[4:5]
.LBB5_7:                                ;   in Loop: Header=BB5_5 Depth=1
	s_or_b64 exec, exec, s[34:35]
	v_sub_u32_e32 v2, s12, v22
	v_mad_u64_u32 v[4:5], s[34:35], v22, v2, 0
	v_ashrrev_i32_e32 v6, 31, v2
	v_mov_b32_e32 v2, v5
	v_mad_u64_u32 v[6:7], s[34:35], v22, v6, v[2:3]
	v_mov_b32_e32 v5, v6
	v_lshlrev_b64 v[4:5], 2, v[4:5]
	v_and_b32_e32 v4, -8, v4
	s_or_b64 s[34:35], s[8:9], s[2:3]
	s_not_b32 s41, s40
	v_lshl_add_u64 v[4:5], s[10:11], 0, v[4:5]
	s_movk_i32 s46, 0x1ff
	s_movk_i32 s47, 0x1ff8
	s_xor_b64 s[34:35], s[34:35], -1
	s_waitcnt lgkmcnt(0)
	s_barrier
	s_branch .LBB5_9
.LBB5_8:                                ;   in Loop: Header=BB5_9 Depth=2
	s_or_b64 exec, exec, s[36:37]
	s_add_i32 s46, s46, -1
	s_add_i32 s47, s47, -8
	s_cmp_eq_u32 s46, -1
	s_cbranch_scc1 .LBB5_17
.LBB5_9:                                ;   Parent Loop BB5_5 Depth=1
                                        ; =>  This Inner Loop Header: Depth=2
	v_add_u32_e32 v2, s46, v20
	v_cmp_eq_u32_e32 vcc, 0, v2
	s_and_b64 s[38:39], vcc, s[34:35]
	s_and_saveexec_b64 s[36:37], s[38:39]
	s_cbranch_execz .LBB5_15
; %bb.10:                               ;   in Loop: Header=BB5_9 Depth=2
	global_load_dwordx2 v[8:9], v[4:5], off
	ds_read_b64 v[6:7], v1
                                        ; implicit-def: $vgpr10_vgpr11
	s_waitcnt vmcnt(0)
	v_cmp_ngt_f32_e64 s[38:39], |v8|, |v9|
	s_and_saveexec_b64 s[48:49], s[38:39]
	s_xor_b64 s[38:39], exec, s[48:49]
	s_cbranch_execz .LBB5_12
; %bb.11:                               ;   in Loop: Header=BB5_9 Depth=2
	v_div_scale_f32 v10, s[48:49], v9, v9, v8
	v_rcp_f32_e32 v11, v10
	v_div_scale_f32 v12, vcc, v8, v9, v8
	v_fma_f32 v13, -v10, v11, 1.0
	v_fmac_f32_e32 v11, v13, v11
	v_mul_f32_e32 v13, v12, v11
	v_fma_f32 v14, -v10, v13, v12
	v_fmac_f32_e32 v13, v14, v11
	v_fma_f32 v10, -v10, v13, v12
	v_div_fmas_f32 v10, v10, v11, v13
	v_div_fixup_f32 v10, v10, v9, v8
	v_fmac_f32_e32 v9, v8, v10
	v_div_scale_f32 v8, s[48:49], v9, v9, 1.0
	v_rcp_f32_e32 v11, v8
	s_nop 0
	v_fma_f32 v12, -v8, v11, 1.0
	v_fmac_f32_e32 v11, v12, v11
	v_div_scale_f32 v12, vcc, 1.0, v9, 1.0
	v_mul_f32_e32 v13, v12, v11
	v_fma_f32 v14, -v8, v13, v12
	v_fmac_f32_e32 v13, v14, v11
	v_fma_f32 v8, -v8, v13, v12
	v_div_fmas_f32 v8, v8, v11, v13
	s_waitcnt lgkmcnt(0)
	v_pk_fma_f32 v[12:13], v[10:11], v[6:7], v[6:7] op_sel:[0,0,1] op_sel_hi:[1,1,0]
	v_pk_fma_f32 v[6:7], v[10:11], v[6:7], v[6:7] op_sel:[0,0,1] op_sel_hi:[0,1,0] neg_lo:[0,0,1] neg_hi:[0,0,1]
	v_div_fixup_f32 v8, v8, v9, 1.0
	v_mov_b32_e32 v13, v7
	v_pk_mul_f32 v[10:11], v[8:9], v[12:13] op_sel_hi:[0,1]
                                        ; implicit-def: $vgpr8_vgpr9
                                        ; implicit-def: $vgpr6_vgpr7
.LBB5_12:                               ;   in Loop: Header=BB5_9 Depth=2
	s_andn2_saveexec_b64 s[38:39], s[38:39]
	s_cbranch_execz .LBB5_14
; %bb.13:                               ;   in Loop: Header=BB5_9 Depth=2
	v_div_scale_f32 v10, s[48:49], v8, v8, v9
	v_rcp_f32_e32 v11, v10
	v_div_scale_f32 v12, vcc, v9, v8, v9
	v_fma_f32 v13, -v10, v11, 1.0
	v_fmac_f32_e32 v11, v13, v11
	v_mul_f32_e32 v13, v12, v11
	v_fma_f32 v14, -v10, v13, v12
	v_fmac_f32_e32 v13, v14, v11
	v_fma_f32 v10, -v10, v13, v12
	v_div_fmas_f32 v10, v10, v11, v13
	v_div_fixup_f32 v10, v10, v8, v9
	v_fmac_f32_e32 v8, v9, v10
	v_div_scale_f32 v9, s[48:49], v8, v8, 1.0
	v_rcp_f32_e32 v11, v9
	s_nop 0
	v_fma_f32 v12, -v9, v11, 1.0
	v_fmac_f32_e32 v11, v12, v11
	v_div_scale_f32 v12, vcc, 1.0, v8, 1.0
	v_mul_f32_e32 v13, v12, v11
	v_fma_f32 v14, -v9, v13, v12
	v_fmac_f32_e32 v13, v14, v11
	v_fma_f32 v9, -v9, v13, v12
	v_div_fmas_f32 v9, v9, v11, v13
	s_waitcnt lgkmcnt(0)
	v_pk_fma_f32 v[12:13], v[10:11], v[6:7], v[6:7] op_sel:[0,1,0] op_sel_hi:[1,0,1]
	v_pk_fma_f32 v[6:7], v[10:11], v[6:7], v[6:7] op_sel:[0,1,0] op_sel_hi:[0,0,1] neg_lo:[1,0,0] neg_hi:[1,0,0]
	v_div_fixup_f32 v8, v9, v8, 1.0
	v_mov_b32_e32 v13, v7
	v_pk_mul_f32 v[10:11], v[8:9], v[12:13] op_sel_hi:[0,1]
.LBB5_14:                               ;   in Loop: Header=BB5_9 Depth=2
	s_or_b64 exec, exec, s[38:39]
	ds_write_b64 v1, v[10:11]
.LBB5_15:                               ;   in Loop: Header=BB5_9 Depth=2
	s_or_b64 exec, exec, s[36:37]
	s_cmp_le_i32 s46, s41
	v_cmp_le_u32_e32 vcc, s46, v0
	s_cselect_b64 s[36:37], -1, 0
	s_or_b64 s[36:37], vcc, s[36:37]
	s_nor_b64 s[38:39], s[2:3], s[36:37]
	s_waitcnt lgkmcnt(0)
	s_barrier
	s_and_saveexec_b64 s[36:37], s[38:39]
	s_cbranch_execz .LBB5_8
; %bb.16:                               ;   in Loop: Header=BB5_9 Depth=2
	v_lshl_add_u64 v[6:7], v[2:3], 3, v[4:5]
	global_load_dwordx2 v[6:7], v[6:7], off
	v_mov_b32_e32 v2, s47
	ds_read_b64 v[8:9], v2
	ds_read_b64 v[10:11], v1
	s_waitcnt vmcnt(0) lgkmcnt(1)
	v_pk_mul_f32 v[12:13], v[8:9], v[6:7] op_sel:[1,1] op_sel_hi:[0,1]
	v_pk_fma_f32 v[14:15], v[8:9], v[6:7], v[12:13] neg_lo:[0,0,1] neg_hi:[0,0,1]
	v_pk_fma_f32 v[6:7], v[8:9], v[6:7], v[12:13] op_sel_hi:[1,0,1]
	s_nop 0
	v_mov_b32_e32 v15, v7
	s_waitcnt lgkmcnt(0)
	v_pk_add_f32 v[6:7], v[10:11], v[14:15] neg_lo:[0,1] neg_hi:[0,1]
	ds_write_b64 v1, v[6:7]
	s_branch .LBB5_8
.LBB5_17:                               ;   in Loop: Header=BB5_5 Depth=1
	s_add_i32 s46, s40, 0xfffffe00
	s_cmp_lt_i32 s40, 1
	s_cselect_b64 s[2:3], -1, 0
	s_and_b64 vcc, exec, s[2:3]
	s_waitcnt lgkmcnt(0)
	s_barrier
	s_cbranch_vccnz .LBB5_41
; %bb.18:                               ;   in Loop: Header=BB5_5 Depth=1
	v_ashrrev_i32_e32 v2, 31, v21
	v_mad_i64_i32 v[4:5], s[34:35], v21, -8, s[24:25]
	v_mov_b32_e32 v7, s33
	v_sub_co_u32_e32 v6, vcc, s12, v21
	s_mov_b64 s[34:35], 0
	s_nop 0
	v_subb_co_u32_e32 v7, vcc, v7, v2, vcc
	v_mov_b32_e32 v2, v21
	v_mov_b32_e32 v23, v0
	s_mov_b32 s47, s46
                                        ; implicit-def: $sgpr36_sgpr37
	s_branch .LBB5_21
.LBB5_19:                               ;   in Loop: Header=BB5_21 Depth=2
	v_mad_u64_u32 v[10:11], s[40:41], s6, v24, 0
	v_mov_b32_e32 v12, v11
	v_mad_u64_u32 v[12:13], s[40:41], s7, v24, v[12:13]
	v_mov_b32_e32 v11, v12
	v_lshl_add_u64 v[10:11], v[10:11], 3, s[4:5]
	global_load_dwordx2 v[12:13], v[10:11], off
	s_add_i32 s48, s47, 0xfffffe00
	s_cmp_lt_i32 s47, 1
	s_cselect_b64 s[40:41], -1, 0
	s_andn2_b64 s[36:37], s[36:37], exec
	s_and_b64 s[40:41], s[40:41], exec
	v_add_u32_e32 v23, 0xfffffe00, v23
	v_lshl_add_u64 v[4:5], v[4:5], 0, s[28:29]
	v_lshl_add_u64 v[6:7], v[6:7], 0, s[30:31]
	v_add_u32_e32 v2, 0xfffffe00, v2
	s_or_b64 s[36:37], s[36:37], s[40:41]
	s_mov_b32 s47, s48
	s_waitcnt vmcnt(0)
	v_pk_add_f32 v[8:9], v[12:13], v[8:9] neg_lo:[0,1] neg_hi:[0,1]
	global_store_dwordx2 v[10:11], v[8:9], off
.LBB5_20:                               ;   in Loop: Header=BB5_21 Depth=2
	s_or_b64 exec, exec, s[38:39]
	s_and_b64 s[38:39], exec, s[36:37]
	s_or_b64 s[34:35], s[38:39], s[34:35]
	s_andn2_b64 exec, exec, s[34:35]
	s_cbranch_execz .LBB5_40
.LBB5_21:                               ;   Parent Loop BB5_5 Depth=1
                                        ; =>  This Loop Header: Depth=2
                                        ;       Child Loop BB5_24 Depth 3
	v_add_u32_e32 v24, s47, v0
	v_cmp_lt_i32_e32 vcc, -1, v24
	s_or_b64 s[36:37], s[36:37], exec
	s_and_saveexec_b64 s[38:39], vcc
	s_cbranch_execz .LBB5_20
; %bb.22:                               ;   in Loop: Header=BB5_21 Depth=2
	v_mad_u64_u32 v[8:9], s[40:41], v6, v2, 0
	v_mov_b32_e32 v10, v9
	v_mad_u64_u32 v[10:11], s[40:41], v7, v2, v[10:11]
	v_mov_b32_e32 v9, v10
	v_lshlrev_b64 v[8:9], 2, v[8:9]
	v_and_b32_e32 v8, -8, v8
	v_lshl_add_u64 v[10:11], v[4:5], 0, v[8:9]
	v_mov_b32_e32 v8, 0
	s_movk_i32 s48, 0x1000
	s_movk_i32 s49, 0x200
	v_mov_b32_e32 v9, v8
	s_branch .LBB5_24
.LBB5_23:                               ;   in Loop: Header=BB5_24 Depth=3
	s_or_b64 exec, exec, s[40:41]
	s_waitcnt lgkmcnt(0)
	v_pk_add_f32 v[8:9], v[8:9], v[12:13]
	s_add_i32 s48, s48, 32
	v_pk_add_f32 v[8:9], v[8:9], v[14:15]
	s_add_i32 s49, s49, -4
	v_pk_add_f32 v[8:9], v[8:9], v[16:17]
	s_cmp_eq_u32 s49, 0
	v_pk_add_f32 v[8:9], v[8:9], v[18:19]
	v_lshl_add_u64 v[10:11], v[10:11], 0, 32
	s_cbranch_scc1 .LBB5_19
.LBB5_24:                               ;   Parent Loop BB5_5 Depth=1
                                        ;     Parent Loop BB5_21 Depth=2
                                        ; =>    This Inner Loop Header: Depth=3
	v_add_u32_e32 v18, s49, v23
	v_cmp_ne_u32_e32 vcc, s42, v18
	s_or_b64 s[40:41], s[26:27], vcc
                                        ; implicit-def: $vgpr13
	s_and_saveexec_b64 s[50:51], s[40:41]
	s_xor_b64 s[40:41], exec, s[50:51]
	s_cbranch_execz .LBB5_26
; %bb.25:                               ;   in Loop: Header=BB5_24 Depth=3
	global_load_dwordx2 v[12:13], v[10:11], off
	v_mov_b32_e32 v14, s48
	ds_read_b64 v[14:15], v14
	s_waitcnt vmcnt(0) lgkmcnt(0)
	v_pk_mul_f32 v[16:17], v[14:15], v[12:13] op_sel:[1,1] op_sel_hi:[0,1]
	v_pk_mul_f32 v[26:27], v[14:15], v[12:13] op_sel_hi:[1,0]
	v_pk_fma_f32 v[12:13], v[14:15], v[12:13], v[16:17] op_sel_hi:[1,0,1]
	s_nop 0
	v_sub_f32_e32 v12, v26, v16
.LBB5_26:                               ;   in Loop: Header=BB5_24 Depth=3
	s_andn2_saveexec_b64 s[40:41], s[40:41]
; %bb.27:                               ;   in Loop: Header=BB5_24 Depth=3
	v_mov_b32_e32 v12, s48
	ds_read_b64 v[12:13], v12
; %bb.28:                               ;   in Loop: Header=BB5_24 Depth=3
	s_or_b64 exec, exec, s[40:41]
	v_cmp_ne_u32_e32 vcc, s43, v18
	s_or_b64 s[40:41], s[26:27], vcc
                                        ; implicit-def: $vgpr15
	s_and_saveexec_b64 s[50:51], s[40:41]
	s_xor_b64 s[40:41], exec, s[50:51]
	s_cbranch_execz .LBB5_30
; %bb.29:                               ;   in Loop: Header=BB5_24 Depth=3
	global_load_dwordx2 v[14:15], v[10:11], off offset:8
	v_mov_b32_e32 v16, s48
	ds_read_b64 v[16:17], v16 offset:8
	s_waitcnt vmcnt(0) lgkmcnt(0)
	v_pk_mul_f32 v[26:27], v[16:17], v[14:15] op_sel:[1,1] op_sel_hi:[0,1]
	v_pk_mul_f32 v[28:29], v[16:17], v[14:15] op_sel_hi:[1,0]
	v_pk_fma_f32 v[14:15], v[16:17], v[14:15], v[26:27] op_sel_hi:[1,0,1]
	s_nop 0
	v_sub_f32_e32 v14, v28, v26
.LBB5_30:                               ;   in Loop: Header=BB5_24 Depth=3
	s_andn2_saveexec_b64 s[40:41], s[40:41]
; %bb.31:                               ;   in Loop: Header=BB5_24 Depth=3
	v_mov_b32_e32 v14, s48
	ds_read_b64 v[14:15], v14 offset:8
; %bb.32:                               ;   in Loop: Header=BB5_24 Depth=3
	s_or_b64 exec, exec, s[40:41]
	v_cmp_ne_u32_e32 vcc, s44, v18
	s_or_b64 s[40:41], s[26:27], vcc
                                        ; implicit-def: $vgpr17
	s_and_saveexec_b64 s[50:51], s[40:41]
	s_xor_b64 s[40:41], exec, s[50:51]
	s_cbranch_execz .LBB5_34
; %bb.33:                               ;   in Loop: Header=BB5_24 Depth=3
	global_load_dwordx2 v[16:17], v[10:11], off offset:16
	v_mov_b32_e32 v19, s48
	ds_read_b64 v[26:27], v19 offset:16
	s_waitcnt vmcnt(0) lgkmcnt(0)
	v_pk_mul_f32 v[28:29], v[26:27], v[16:17] op_sel:[1,1] op_sel_hi:[0,1]
	v_pk_mul_f32 v[30:31], v[26:27], v[16:17] op_sel_hi:[1,0]
	v_pk_fma_f32 v[16:17], v[26:27], v[16:17], v[28:29] op_sel_hi:[1,0,1]
	s_nop 0
	v_sub_f32_e32 v16, v30, v28
.LBB5_34:                               ;   in Loop: Header=BB5_24 Depth=3
	s_andn2_saveexec_b64 s[40:41], s[40:41]
; %bb.35:                               ;   in Loop: Header=BB5_24 Depth=3
	v_mov_b32_e32 v16, s48
	ds_read_b64 v[16:17], v16 offset:16
; %bb.36:                               ;   in Loop: Header=BB5_24 Depth=3
	s_or_b64 exec, exec, s[40:41]
	v_cmp_ne_u32_e32 vcc, s45, v18
	s_or_b64 s[40:41], s[26:27], vcc
                                        ; implicit-def: $vgpr19
	s_and_saveexec_b64 s[50:51], s[40:41]
	s_xor_b64 s[40:41], exec, s[50:51]
	s_cbranch_execz .LBB5_38
; %bb.37:                               ;   in Loop: Header=BB5_24 Depth=3
	global_load_dwordx2 v[18:19], v[10:11], off offset:24
	v_mov_b32_e32 v25, s48
	ds_read_b64 v[26:27], v25 offset:24
	s_waitcnt vmcnt(0) lgkmcnt(0)
	v_pk_mul_f32 v[28:29], v[26:27], v[18:19] op_sel:[1,1] op_sel_hi:[0,1]
	v_pk_mul_f32 v[30:31], v[26:27], v[18:19] op_sel_hi:[1,0]
	v_pk_fma_f32 v[18:19], v[26:27], v[18:19], v[28:29] op_sel_hi:[1,0,1]
	s_nop 0
	v_sub_f32_e32 v18, v30, v28
.LBB5_38:                               ;   in Loop: Header=BB5_24 Depth=3
	s_andn2_saveexec_b64 s[40:41], s[40:41]
	s_cbranch_execz .LBB5_23
; %bb.39:                               ;   in Loop: Header=BB5_24 Depth=3
	v_mov_b32_e32 v18, s48
	ds_read_b64 v[18:19], v18 offset:24
	s_branch .LBB5_23
.LBB5_40:                               ;   in Loop: Header=BB5_5 Depth=1
	s_or_b64 exec, exec, s[34:35]
.LBB5_41:                               ;   in Loop: Header=BB5_5 Depth=1
	s_and_saveexec_b64 s[34:35], s[0:1]
	s_cbranch_execz .LBB5_4
; %bb.42:                               ;   in Loop: Header=BB5_5 Depth=1
	v_mad_u64_u32 v[4:5], s[0:1], s6, v22, 0
	ds_read_b64 v[6:7], v1
	v_mov_b32_e32 v2, v5
	v_mad_u64_u32 v[8:9], s[0:1], s7, v22, v[2:3]
	v_mov_b32_e32 v5, v8
	v_lshl_add_u64 v[4:5], v[4:5], 3, s[4:5]
	s_waitcnt lgkmcnt(0)
	global_store_dwordx2 v[4:5], v[6:7], off
	s_branch .LBB5_4
.LBB5_43:
	s_mov_b64 s[0:1], 0
.LBB5_44:
	s_andn2_b64 vcc, exec, s[0:1]
	s_cbranch_vccnz .LBB5_91
; %bb.45:
	s_andn2_b64 vcc, exec, s[14:15]
	s_cbranch_vccnz .LBB5_91
; %bb.46:
	v_mov_b32_e32 v2, 0
	v_mov_b32_e32 v1, v2
	v_mad_u64_u32 v[4:5], s[0:1], v0, v0, v[0:1]
	v_lshlrev_b32_e32 v6, 10, v0
	v_mov_b32_e32 v7, v2
	s_mov_b64 s[0:1], 0x40200
	v_lshlrev_b32_e32 v20, 3, v0
	v_lshl_add_u64 v[8:9], v[6:7], 0, s[0:1]
	v_or_b32_e32 v6, 0x200, v0
	s_mov_b32 s12, 0
	v_add_u32_e32 v1, 0x201, v0
	s_xor_b64 s[24:25], s[8:9], -1
	s_mov_b64 s[26:27], 0x200
	s_mov_b64 s[28:29], 0x80000
	;; [unrolled: 1-line block ×3, first 2 shown]
	s_branch .LBB5_48
.LBB5_47:                               ;   in Loop: Header=BB5_48 Depth=1
	s_or_b64 exec, exec, s[34:35]
	s_add_u32 s30, s30, 0x1000
	v_lshl_add_u64 v[10:11], v[8:9], 0, s[28:29]
	s_addc_u32 s31, s31, 0
	v_lshl_add_u64 v[4:5], v[4:5], 0, v[8:9]
	v_lshl_add_u64 v[6:7], v[6:7], 0, s[26:27]
	v_add_u32_e32 v1, 0x200, v1
	s_and_b64 vcc, exec, s[2:3]
	v_mov_b64_e32 v[8:9], v[10:11]
	s_mov_b32 s12, s33
	s_barrier
	s_cbranch_vccnz .LBB5_91
.LBB5_48:                               ; =>This Loop Header: Depth=1
                                        ;     Child Loop BB5_52 Depth 2
                                        ;     Child Loop BB5_65 Depth 2
                                        ;       Child Loop BB5_68 Depth 3
	v_add_u32_e32 v21, s12, v0
	v_cmp_le_i32_e32 vcc, s13, v21
	v_cmp_gt_i32_e64 s[0:1], s13, v21
	s_and_saveexec_b64 s[2:3], s[0:1]
	s_cbranch_execz .LBB5_50
; %bb.49:                               ;   in Loop: Header=BB5_48 Depth=1
	v_mad_u64_u32 v[10:11], s[34:35], s6, v21, 0
	v_mov_b32_e32 v12, v11
	v_mad_u64_u32 v[12:13], s[34:35], s7, v21, v[12:13]
	v_mov_b32_e32 v11, v12
	v_lshl_add_u64 v[10:11], v[10:11], 3, s[4:5]
	global_load_dwordx2 v[10:11], v[10:11], off
	s_waitcnt vmcnt(0)
	ds_write_b64 v20, v[10:11]
.LBB5_50:                               ;   in Loop: Header=BB5_48 Depth=1
	s_or_b64 exec, exec, s[2:3]
	v_or_b32_e32 v12, s12, v0
	v_add_u32_e32 v3, 1, v12
	v_mad_u64_u32 v[14:15], s[34:35], v3, v12, 0
	v_lshlrev_b64 v[10:11], 2, v[4:5]
	v_mov_b32_e32 v13, v2
	v_lshlrev_b64 v[14:15], 2, v[14:15]
	v_and_b32_e32 v10, -8, v10
	v_cmp_le_i32_e64 s[2:3], s13, v12
	v_lshl_add_u64 v[12:13], v[12:13], 3, s[10:11]
	v_and_b32_e32 v14, -8, v14
	v_lshl_add_u64 v[10:11], s[30:31], 0, v[10:11]
	v_lshl_add_u64 v[12:13], v[12:13], 0, v[14:15]
	s_mov_b32 s33, 0
	s_xor_b64 s[34:35], vcc, -1
	s_mov_b32 s40, 0
	s_waitcnt lgkmcnt(0)
	s_barrier
	s_branch .LBB5_52
.LBB5_51:                               ;   in Loop: Header=BB5_52 Depth=2
	s_or_b64 exec, exec, s[36:37]
	s_add_i32 s40, s40, 1
	s_add_i32 s33, s33, 8
	s_cmpk_eq_i32 s40, 0x200
	v_lshl_add_u64 v[10:11], v[10:11], 0, 8
	s_cbranch_scc1 .LBB5_61
.LBB5_52:                               ;   Parent Loop BB5_48 Depth=1
                                        ; =>  This Inner Loop Header: Depth=2
	v_cmp_ne_u32_e32 vcc, s40, v0
	s_or_b64 s[36:37], s[8:9], vcc
	s_nor_b64 s[38:39], s[36:37], s[2:3]
	s_and_saveexec_b64 s[36:37], s[38:39]
	s_cbranch_execz .LBB5_58
; %bb.53:                               ;   in Loop: Header=BB5_52 Depth=2
	global_load_dwordx2 v[16:17], v[12:13], off
	ds_read_b64 v[14:15], v20
                                        ; implicit-def: $vgpr18_vgpr19
	s_waitcnt vmcnt(0)
	v_cmp_ngt_f32_e64 s[38:39], |v16|, |v17|
	s_and_saveexec_b64 s[42:43], s[38:39]
	s_xor_b64 s[38:39], exec, s[42:43]
	s_cbranch_execz .LBB5_55
; %bb.54:                               ;   in Loop: Header=BB5_52 Depth=2
	v_div_scale_f32 v3, s[42:43], v17, v17, v16
	v_rcp_f32_e32 v18, v3
	v_div_scale_f32 v19, vcc, v16, v17, v16
	v_fma_f32 v22, -v3, v18, 1.0
	v_fmac_f32_e32 v18, v22, v18
	v_mul_f32_e32 v22, v19, v18
	v_fma_f32 v23, -v3, v22, v19
	v_fmac_f32_e32 v22, v23, v18
	v_fma_f32 v3, -v3, v22, v19
	v_div_fmas_f32 v3, v3, v18, v22
	v_div_fixup_f32 v18, v3, v17, v16
	v_fmac_f32_e32 v17, v16, v18
	v_div_scale_f32 v3, s[42:43], v17, v17, 1.0
	v_rcp_f32_e32 v16, v3
	s_nop 0
	v_fma_f32 v19, -v3, v16, 1.0
	v_fmac_f32_e32 v16, v19, v16
	v_div_scale_f32 v19, vcc, 1.0, v17, 1.0
	v_mul_f32_e32 v22, v19, v16
	v_fma_f32 v23, -v3, v22, v19
	v_fmac_f32_e32 v22, v23, v16
	v_fma_f32 v3, -v3, v22, v19
	v_div_fmas_f32 v3, v3, v16, v22
	s_waitcnt lgkmcnt(0)
	v_pk_fma_f32 v[22:23], v[18:19], v[14:15], v[14:15] op_sel:[0,0,1] op_sel_hi:[1,1,0]
	v_pk_fma_f32 v[14:15], v[18:19], v[14:15], v[14:15] op_sel:[0,0,1] op_sel_hi:[0,1,0] neg_lo:[0,0,1] neg_hi:[0,0,1]
	v_div_fixup_f32 v16, v3, v17, 1.0
	v_mov_b32_e32 v23, v15
	v_pk_mul_f32 v[18:19], v[16:17], v[22:23] op_sel_hi:[0,1]
                                        ; implicit-def: $vgpr16_vgpr17
                                        ; implicit-def: $vgpr14_vgpr15
.LBB5_55:                               ;   in Loop: Header=BB5_52 Depth=2
	s_andn2_saveexec_b64 s[38:39], s[38:39]
	s_cbranch_execz .LBB5_57
; %bb.56:                               ;   in Loop: Header=BB5_52 Depth=2
	v_div_scale_f32 v3, s[42:43], v16, v16, v17
	v_rcp_f32_e32 v18, v3
	v_div_scale_f32 v19, vcc, v17, v16, v17
	v_fma_f32 v22, -v3, v18, 1.0
	v_fmac_f32_e32 v18, v22, v18
	v_mul_f32_e32 v22, v19, v18
	v_fma_f32 v23, -v3, v22, v19
	v_fmac_f32_e32 v22, v23, v18
	v_fma_f32 v3, -v3, v22, v19
	v_div_fmas_f32 v3, v3, v18, v22
	v_div_fixup_f32 v18, v3, v16, v17
	v_fmac_f32_e32 v16, v17, v18
	v_div_scale_f32 v3, s[42:43], v16, v16, 1.0
	v_rcp_f32_e32 v17, v3
	s_nop 0
	v_fma_f32 v19, -v3, v17, 1.0
	v_fmac_f32_e32 v17, v19, v17
	v_div_scale_f32 v19, vcc, 1.0, v16, 1.0
	v_mul_f32_e32 v22, v19, v17
	v_fma_f32 v23, -v3, v22, v19
	v_fmac_f32_e32 v22, v23, v17
	v_fma_f32 v3, -v3, v22, v19
	v_div_fmas_f32 v3, v3, v17, v22
	s_waitcnt lgkmcnt(0)
	v_pk_fma_f32 v[22:23], v[18:19], v[14:15], v[14:15] op_sel:[0,1,0] op_sel_hi:[1,0,1]
	v_pk_fma_f32 v[14:15], v[18:19], v[14:15], v[14:15] op_sel:[0,1,0] op_sel_hi:[0,0,1] neg_lo:[1,0,0] neg_hi:[1,0,0]
	v_div_fixup_f32 v16, v3, v16, 1.0
	v_mov_b32_e32 v23, v15
	v_pk_mul_f32 v[18:19], v[16:17], v[22:23] op_sel_hi:[0,1]
.LBB5_57:                               ;   in Loop: Header=BB5_52 Depth=2
	s_or_b64 exec, exec, s[38:39]
	ds_write_b64 v20, v[18:19]
.LBB5_58:                               ;   in Loop: Header=BB5_52 Depth=2
	s_or_b64 exec, exec, s[36:37]
	v_cmp_lt_u32_e32 vcc, s40, v0
	s_waitcnt lgkmcnt(0)
	s_barrier
	s_and_saveexec_b64 s[36:37], vcc
	s_cbranch_execz .LBB5_51
; %bb.59:                               ;   in Loop: Header=BB5_52 Depth=2
	s_add_i32 s38, s12, s40
	s_cmp_lt_i32 s38, s13
	s_cselect_b64 s[38:39], -1, 0
	s_and_b64 s[38:39], s[34:35], s[38:39]
	s_and_b64 exec, exec, s[38:39]
	s_cbranch_execz .LBB5_51
; %bb.60:                               ;   in Loop: Header=BB5_52 Depth=2
	global_load_dwordx2 v[14:15], v[10:11], off
	v_mov_b32_e32 v3, s33
	ds_read_b64 v[16:17], v3
	ds_read_b64 v[18:19], v20
	s_waitcnt vmcnt(0) lgkmcnt(1)
	v_pk_mul_f32 v[22:23], v[16:17], v[14:15] op_sel:[1,1] op_sel_hi:[0,1]
	v_pk_fma_f32 v[24:25], v[16:17], v[14:15], v[22:23] neg_lo:[0,0,1] neg_hi:[0,0,1]
	v_pk_fma_f32 v[14:15], v[16:17], v[14:15], v[22:23] op_sel_hi:[1,0,1]
	s_nop 0
	v_mov_b32_e32 v25, v15
	s_waitcnt lgkmcnt(0)
	v_pk_add_f32 v[14:15], v[18:19], v[24:25] neg_lo:[0,1] neg_hi:[0,1]
	ds_write_b64 v20, v[14:15]
	s_branch .LBB5_51
.LBB5_61:                               ;   in Loop: Header=BB5_48 Depth=1
	s_add_i32 s33, s12, 0x200
	s_cmp_ge_i32 s33, s13
	s_cselect_b64 s[2:3], -1, 0
	s_and_b64 vcc, exec, s[2:3]
	s_waitcnt lgkmcnt(0)
	s_barrier
	s_cbranch_vccnz .LBB5_89
; %bb.62:                               ;   in Loop: Header=BB5_48 Depth=1
	s_mov_b64 s[34:35], 0
	v_mov_b32_e32 v16, v1
	v_mov_b64_e32 v[10:11], v[6:7]
	v_mov_b32_e32 v17, v0
	s_mov_b32 s42, s33
                                        ; implicit-def: $sgpr36_sgpr37
	s_branch .LBB5_65
.LBB5_63:                               ;   in Loop: Header=BB5_65 Depth=2
	v_mad_u64_u32 v[14:15], s[40:41], s6, v18, 0
	v_mov_b32_e32 v22, v15
	v_mad_u64_u32 v[18:19], s[40:41], s7, v18, v[22:23]
	v_mov_b32_e32 v15, v18
	v_lshl_add_u64 v[14:15], v[14:15], 3, s[4:5]
	global_load_dwordx2 v[18:19], v[14:15], off
	s_addk_i32 s42, 0x200
	s_cmp_ge_i32 s42, s13
	s_cselect_b64 s[40:41], -1, 0
	s_andn2_b64 s[36:37], s[36:37], exec
	s_and_b64 s[40:41], s[40:41], exec
	v_lshl_add_u64 v[10:11], v[10:11], 0, s[26:27]
	v_add_u32_e32 v16, 0x200, v16
	s_or_b64 s[36:37], s[36:37], s[40:41]
	s_waitcnt vmcnt(0)
	v_pk_add_f32 v[12:13], v[18:19], v[12:13] neg_lo:[0,1] neg_hi:[0,1]
	global_store_dwordx2 v[14:15], v[12:13], off
.LBB5_64:                               ;   in Loop: Header=BB5_65 Depth=2
	s_or_b64 exec, exec, s[38:39]
	s_and_b64 s[38:39], exec, s[36:37]
	s_or_b64 s[34:35], s[38:39], s[34:35]
	s_andn2_b64 exec, exec, s[34:35]
	s_cbranch_execz .LBB5_88
.LBB5_65:                               ;   Parent Loop BB5_48 Depth=1
                                        ; =>  This Loop Header: Depth=2
                                        ;       Child Loop BB5_68 Depth 3
	v_add_u32_e32 v18, s42, v0
	v_cmp_gt_i32_e32 vcc, s13, v18
	s_or_b64 s[36:37], s[36:37], exec
	s_and_saveexec_b64 s[38:39], vcc
	s_cbranch_execz .LBB5_64
; %bb.66:                               ;   in Loop: Header=BB5_65 Depth=2
	v_mad_u64_u32 v[12:13], s[40:41], v10, v16, 0
	v_mov_b32_e32 v14, v13
	v_mad_u64_u32 v[14:15], s[40:41], v11, v16, v[14:15]
	v_mov_b32_e32 v13, v14
	v_lshlrev_b64 v[12:13], 2, v[12:13]
	v_and_b32_e32 v12, -8, v12
	v_mov_b32_e32 v3, v2
	v_lshl_add_u64 v[14:15], s[30:31], 0, v[12:13]
	v_add_u32_e32 v19, 0x1fd, v17
	v_add_u32_e32 v22, 0x1fe, v17
	;; [unrolled: 1-line block ×4, first 2 shown]
	s_mov_b32 s43, 0
	s_mov_b32 s44, 0
	v_mov_b64_e32 v[12:13], v[2:3]
	s_branch .LBB5_68
.LBB5_67:                               ;   in Loop: Header=BB5_68 Depth=3
	s_or_b64 exec, exec, s[40:41]
	s_add_i32 s44, s44, 4
	s_add_i32 s43, s43, 32
	s_cmpk_eq_i32 s44, 0x200
	v_lshl_add_u64 v[14:15], v[14:15], 0, 32
	s_cbranch_scc1 .LBB5_63
.LBB5_68:                               ;   Parent Loop BB5_48 Depth=1
                                        ;     Parent Loop BB5_65 Depth=2
                                        ; =>    This Inner Loop Header: Depth=3
	v_cmp_ne_u32_e32 vcc, s44, v17
	s_add_i32 s45, s12, s44
	s_or_b64 s[40:41], s[24:25], vcc
	s_and_saveexec_b64 s[46:47], s[40:41]
	s_xor_b64 s[40:41], exec, s[46:47]
	s_cbranch_execz .LBB5_71
; %bb.69:                               ;   in Loop: Header=BB5_68 Depth=3
	s_cmp_ge_i32 s45, s13
	s_cbranch_scc1 .LBB5_71
; %bb.70:                               ;   in Loop: Header=BB5_68 Depth=3
	global_load_dwordx2 v[24:25], v[14:15], off
	v_mov_b32_e32 v3, s43
	ds_read_b64 v[26:27], v3
	s_waitcnt vmcnt(0) lgkmcnt(0)
	v_pk_mul_f32 v[28:29], v[26:27], v[24:25] op_sel:[1,1] op_sel_hi:[0,1]
	v_pk_fma_f32 v[30:31], v[26:27], v[24:25], v[28:29] neg_lo:[0,0,1] neg_hi:[0,0,1]
	v_pk_fma_f32 v[24:25], v[26:27], v[24:25], v[28:29] op_sel_hi:[1,0,1]
	s_nop 0
	v_mov_b32_e32 v31, v25
	v_pk_add_f32 v[12:13], v[12:13], v[30:31]
.LBB5_71:                               ;   in Loop: Header=BB5_68 Depth=3
	s_andn2_saveexec_b64 s[40:41], s[40:41]
	s_cbranch_execz .LBB5_73
; %bb.72:                               ;   in Loop: Header=BB5_68 Depth=3
	v_mov_b32_e32 v3, s43
	ds_read_b64 v[24:25], v3
	s_waitcnt lgkmcnt(0)
	v_pk_add_f32 v[12:13], v[12:13], v[24:25]
.LBB5_73:                               ;   in Loop: Header=BB5_68 Depth=3
	s_or_b64 exec, exec, s[40:41]
	v_cmp_ne_u32_e32 vcc, s44, v23
	s_or_b64 s[40:41], s[24:25], vcc
	s_and_saveexec_b64 s[46:47], s[40:41]
	s_xor_b64 s[40:41], exec, s[46:47]
	s_cbranch_execz .LBB5_76
; %bb.74:                               ;   in Loop: Header=BB5_68 Depth=3
	s_add_i32 s46, s45, 1
	s_cmp_ge_i32 s46, s13
	s_cbranch_scc1 .LBB5_76
; %bb.75:                               ;   in Loop: Header=BB5_68 Depth=3
	global_load_dwordx2 v[24:25], v[14:15], off offset:8
	v_mov_b32_e32 v3, s43
	ds_read_b64 v[26:27], v3 offset:8
	s_waitcnt vmcnt(0) lgkmcnt(0)
	v_pk_mul_f32 v[28:29], v[26:27], v[24:25] op_sel:[1,1] op_sel_hi:[0,1]
	v_pk_fma_f32 v[30:31], v[26:27], v[24:25], v[28:29] neg_lo:[0,0,1] neg_hi:[0,0,1]
	v_pk_fma_f32 v[24:25], v[26:27], v[24:25], v[28:29] op_sel_hi:[1,0,1]
	s_nop 0
	v_mov_b32_e32 v31, v25
	v_pk_add_f32 v[12:13], v[12:13], v[30:31]
.LBB5_76:                               ;   in Loop: Header=BB5_68 Depth=3
	s_andn2_saveexec_b64 s[40:41], s[40:41]
	s_cbranch_execz .LBB5_78
; %bb.77:                               ;   in Loop: Header=BB5_68 Depth=3
	v_mov_b32_e32 v3, s43
	ds_read_b64 v[24:25], v3 offset:8
	s_waitcnt lgkmcnt(0)
	v_pk_add_f32 v[12:13], v[12:13], v[24:25]
.LBB5_78:                               ;   in Loop: Header=BB5_68 Depth=3
	s_or_b64 exec, exec, s[40:41]
	v_cmp_ne_u32_e32 vcc, s44, v22
	s_or_b64 s[40:41], s[24:25], vcc
	s_and_saveexec_b64 s[46:47], s[40:41]
	s_xor_b64 s[40:41], exec, s[46:47]
	s_cbranch_execz .LBB5_81
; %bb.79:                               ;   in Loop: Header=BB5_68 Depth=3
	s_add_i32 s46, s45, 2
	s_cmp_ge_i32 s46, s13
	s_cbranch_scc1 .LBB5_81
; %bb.80:                               ;   in Loop: Header=BB5_68 Depth=3
	global_load_dwordx2 v[24:25], v[14:15], off offset:16
	v_mov_b32_e32 v3, s43
	ds_read_b64 v[26:27], v3 offset:16
	s_waitcnt vmcnt(0) lgkmcnt(0)
	v_pk_mul_f32 v[28:29], v[26:27], v[24:25] op_sel:[1,1] op_sel_hi:[0,1]
	v_pk_fma_f32 v[30:31], v[26:27], v[24:25], v[28:29] neg_lo:[0,0,1] neg_hi:[0,0,1]
	v_pk_fma_f32 v[24:25], v[26:27], v[24:25], v[28:29] op_sel_hi:[1,0,1]
	s_nop 0
	v_mov_b32_e32 v31, v25
	v_pk_add_f32 v[12:13], v[12:13], v[30:31]
.LBB5_81:                               ;   in Loop: Header=BB5_68 Depth=3
	s_andn2_saveexec_b64 s[40:41], s[40:41]
	s_cbranch_execz .LBB5_83
; %bb.82:                               ;   in Loop: Header=BB5_68 Depth=3
	v_mov_b32_e32 v3, s43
	ds_read_b64 v[24:25], v3 offset:16
	s_waitcnt lgkmcnt(0)
	v_pk_add_f32 v[12:13], v[12:13], v[24:25]
.LBB5_83:                               ;   in Loop: Header=BB5_68 Depth=3
	s_or_b64 exec, exec, s[40:41]
	v_cmp_ne_u32_e32 vcc, s44, v19
	s_or_b64 s[40:41], s[24:25], vcc
	s_and_saveexec_b64 s[46:47], s[40:41]
	s_xor_b64 s[40:41], exec, s[46:47]
	s_cbranch_execz .LBB5_86
; %bb.84:                               ;   in Loop: Header=BB5_68 Depth=3
	s_add_i32 s45, s45, 3
	s_cmp_ge_i32 s45, s13
	s_cbranch_scc1 .LBB5_86
; %bb.85:                               ;   in Loop: Header=BB5_68 Depth=3
	global_load_dwordx2 v[24:25], v[14:15], off offset:24
	v_mov_b32_e32 v3, s43
	ds_read_b64 v[26:27], v3 offset:24
	s_waitcnt vmcnt(0) lgkmcnt(0)
	v_pk_mul_f32 v[28:29], v[26:27], v[24:25] op_sel:[1,1] op_sel_hi:[0,1]
	v_pk_fma_f32 v[30:31], v[26:27], v[24:25], v[28:29] neg_lo:[0,0,1] neg_hi:[0,0,1]
	v_pk_fma_f32 v[24:25], v[26:27], v[24:25], v[28:29] op_sel_hi:[1,0,1]
	s_nop 0
	v_mov_b32_e32 v31, v25
	v_pk_add_f32 v[12:13], v[12:13], v[30:31]
.LBB5_86:                               ;   in Loop: Header=BB5_68 Depth=3
	s_andn2_saveexec_b64 s[40:41], s[40:41]
	s_cbranch_execz .LBB5_67
; %bb.87:                               ;   in Loop: Header=BB5_68 Depth=3
	v_mov_b32_e32 v3, s43
	ds_read_b64 v[24:25], v3 offset:24
	s_waitcnt lgkmcnt(0)
	v_pk_add_f32 v[12:13], v[12:13], v[24:25]
	s_branch .LBB5_67
.LBB5_88:                               ;   in Loop: Header=BB5_48 Depth=1
	s_or_b64 exec, exec, s[34:35]
.LBB5_89:                               ;   in Loop: Header=BB5_48 Depth=1
	s_and_saveexec_b64 s[34:35], s[0:1]
	s_cbranch_execz .LBB5_47
; %bb.90:                               ;   in Loop: Header=BB5_48 Depth=1
	v_mad_u64_u32 v[10:11], s[0:1], s6, v21, 0
	ds_read_b64 v[14:15], v20
	v_mov_b32_e32 v12, v11
	v_mad_u64_u32 v[12:13], s[0:1], s7, v21, v[12:13]
	v_mov_b32_e32 v11, v12
	v_lshl_add_u64 v[10:11], v[10:11], 3, s[4:5]
	s_waitcnt lgkmcnt(0)
	global_store_dwordx2 v[10:11], v[14:15], off
	s_branch .LBB5_47
.LBB5_91:
	s_mov_b64 s[0:1], 0
.LBB5_92:
	s_andn2_b64 vcc, exec, s[0:1]
	s_cbranch_vccnz .LBB5_166
; %bb.93:
	s_mov_b64 s[0:1], -1
	s_and_b64 vcc, exec, s[20:21]
	s_cbranch_vccz .LBB5_132
; %bb.94:
	s_andn2_b64 vcc, exec, s[14:15]
	s_cbranch_vccnz .LBB5_131
; %bb.95:
	s_lshl_b32 s20, s13, 1
	s_or_b32 s12, s20, 1
	s_ashr_i32 s21, s20, 31
	s_add_u32 s0, s18, s22
	s_addc_u32 s1, s19, s23
	s_add_u32 s16, s16, s0
	s_addc_u32 s17, s17, s1
	s_lshl_b64 s[0:1], s[20:21], 9
	s_add_u32 s42, s0, 0xfffc0200
	s_addc_u32 s43, s1, -1
	s_add_u32 s18, s16, -8
	s_addc_u32 s19, s17, -1
	s_add_u32 s36, s0, 0xfffbfe00
	s_addc_u32 s37, s1, -1
	s_lshl_b64 s[0:1], s[20:21], 1
	s_add_u32 s22, s0, -6
	v_mov_b32_e32 v4, 0
	s_addc_u32 s23, s1, -1
	v_lshlrev_b32_e32 v2, 3, v0
	v_mov_b32_e32 v3, v4
	s_add_u32 s24, s0, -2
	v_mov_b32_e32 v1, v4
	v_lshl_add_u64 v[6:7], s[16:17], 0, v[2:3]
	v_or_b32_e32 v8, 0x200, v0
	s_addc_u32 s25, s1, -1
	s_mov_b64 s[26:27], 0
	s_mov_b64 s[28:29], 0x200
	;; [unrolled: 1-line block ×7, first 2 shown]
	s_branch .LBB5_97
.LBB5_96:                               ;   in Loop: Header=BB5_97 Depth=1
	s_or_b64 exec, exec, s[44:45]
	s_add_u32 s0, s42, 0xfff80000
	s_addc_u32 s1, s43, -1
	s_add_u32 s26, s26, s42
	s_addc_u32 s27, s27, s43
	s_add_u32 s40, s40, 0xfffffc00
	s_addc_u32 s41, s41, -1
	s_add_u32 s38, s38, 0xfffffe00
	s_addc_u32 s39, s39, -1
	;; [unrolled: 2-line block ×3, first 2 shown]
	s_add_u32 s20, s20, s36
	s_addc_u32 s21, s21, s37
	s_add_u32 s22, s22, 0xfffff800
	s_addc_u32 s23, s23, -1
	s_add_u32 s24, s24, 0xfffff800
	v_add_u32_e32 v8, 0x200, v8
	s_addc_u32 s25, s25, -1
	s_and_b64 vcc, exec, s[46:47]
	s_mov_b64 s[36:37], s[42:43]
	s_mov_b64 s[42:43], s[0:1]
	;; [unrolled: 1-line block ×3, first 2 shown]
	s_barrier
	s_cbranch_vccnz .LBB5_131
.LBB5_97:                               ; =>This Loop Header: Depth=1
                                        ;     Child Loop BB5_101 Depth 2
                                        ;     Child Loop BB5_114 Depth 2
                                        ;       Child Loop BB5_116 Depth 3
	v_add_u32_e32 v3, s44, v0
	v_cmp_le_i32_e32 vcc, s13, v3
	v_cmp_gt_i32_e64 s[0:1], s13, v3
	s_and_saveexec_b64 s[2:3], s[0:1]
	s_cbranch_execz .LBB5_99
; %bb.98:                               ;   in Loop: Header=BB5_97 Depth=1
	v_mad_u64_u32 v[10:11], s[46:47], s6, v3, 0
	v_mov_b32_e32 v12, v11
	v_mad_u64_u32 v[12:13], s[46:47], s7, v3, v[12:13]
	v_mov_b32_e32 v11, v12
	v_lshl_add_u64 v[10:11], v[10:11], 3, s[4:5]
	global_load_dwordx2 v[10:11], v[10:11], off
	s_waitcnt vmcnt(0)
	ds_write_b64 v2, v[10:11]
.LBB5_99:                               ;   in Loop: Header=BB5_97 Depth=1
	s_or_b64 exec, exec, s[2:3]
	v_or_b32_e32 v5, s44, v0
	v_sub_u32_e32 v9, s12, v5
	v_mad_u64_u32 v[10:11], s[46:47], v9, v5, 0
	v_ashrrev_i32_e32 v13, 31, v9
	v_mov_b32_e32 v12, v11
	v_mad_u64_u32 v[12:13], s[46:47], v13, v5, v[12:13]
	v_mov_b32_e32 v11, v12
	v_lshlrev_b64 v[10:11], 2, v[10:11]
	v_and_b32_e32 v10, -8, v10
	v_cmp_le_i32_e64 s[2:3], s13, v5
	v_lshl_add_u64 v[10:11], s[10:11], 0, v[10:11]
	s_mov_b64 s[46:47], 0
	s_mov_b32 s33, 0
	s_xor_b64 s[48:49], vcc, -1
	s_mov_b64 s[50:51], s[26:27]
	s_mov_b64 s[52:53], s[40:41]
	v_mov_b64_e32 v[12:13], v[6:7]
	s_waitcnt lgkmcnt(0)
	s_barrier
	s_branch .LBB5_101
.LBB5_100:                              ;   in Loop: Header=BB5_101 Depth=2
	s_or_b64 exec, exec, s[54:55]
	s_add_u32 s46, s46, 1
	s_addc_u32 s47, s47, 0
	s_add_u32 s54, s52, -2
	s_addc_u32 s55, s53, -1
	s_add_u32 s50, s50, s52
	s_addc_u32 s51, s51, s53
	s_add_i32 s33, s33, 8
	v_lshl_add_u64 v[12:13], v[12:13], 0, -8
	s_cmpk_eq_i32 s46, 0x200
	s_mov_b64 s[52:53], s[54:55]
	s_cbranch_scc1 .LBB5_110
.LBB5_101:                              ;   Parent Loop BB5_97 Depth=1
                                        ; =>  This Inner Loop Header: Depth=2
	v_cmp_ne_u32_e32 vcc, s46, v0
	s_or_b64 s[54:55], s[8:9], vcc
	s_nor_b64 s[56:57], s[54:55], s[2:3]
	s_and_saveexec_b64 s[54:55], s[56:57]
	s_cbranch_execz .LBB5_107
; %bb.102:                              ;   in Loop: Header=BB5_101 Depth=2
	global_load_dwordx2 v[16:17], v[10:11], off
	ds_read_b64 v[14:15], v2
                                        ; implicit-def: $vgpr18_vgpr19
	s_waitcnt vmcnt(0)
	v_cmp_ngt_f32_e64 s[56:57], |v16|, |v17|
	s_and_saveexec_b64 s[58:59], s[56:57]
	s_xor_b64 s[56:57], exec, s[58:59]
	s_cbranch_execz .LBB5_104
; %bb.103:                              ;   in Loop: Header=BB5_101 Depth=2
	v_div_scale_f32 v5, s[58:59], v17, v17, v16
	v_rcp_f32_e32 v9, v5
	v_div_scale_f32 v18, vcc, v16, v17, v16
	v_fma_f32 v19, -v5, v9, 1.0
	v_fmac_f32_e32 v9, v19, v9
	v_mul_f32_e32 v19, v18, v9
	v_fma_f32 v20, -v5, v19, v18
	v_fmac_f32_e32 v19, v20, v9
	v_fma_f32 v5, -v5, v19, v18
	v_div_fmas_f32 v5, v5, v9, v19
	v_div_fixup_f32 v18, v5, v17, v16
	v_fmac_f32_e32 v17, v16, v18
	v_div_scale_f32 v5, s[58:59], v17, v17, 1.0
	v_rcp_f32_e32 v9, v5
	s_nop 0
	v_fma_f32 v16, -v5, v9, 1.0
	v_fmac_f32_e32 v9, v16, v9
	v_div_scale_f32 v16, vcc, 1.0, v17, 1.0
	v_mul_f32_e32 v19, v16, v9
	v_fma_f32 v20, -v5, v19, v16
	v_fmac_f32_e32 v19, v20, v9
	v_fma_f32 v5, -v5, v19, v16
	v_div_fmas_f32 v5, v5, v9, v19
	s_waitcnt lgkmcnt(0)
	v_pk_fma_f32 v[20:21], v[18:19], v[14:15], v[14:15] op_sel:[0,0,1] op_sel_hi:[1,1,0]
	v_pk_fma_f32 v[14:15], v[18:19], v[14:15], v[14:15] op_sel:[0,0,1] op_sel_hi:[0,1,0] neg_lo:[0,0,1] neg_hi:[0,0,1]
	v_div_fixup_f32 v16, v5, v17, 1.0
	v_mov_b32_e32 v21, v15
	v_pk_mul_f32 v[18:19], v[16:17], v[20:21] op_sel_hi:[0,1]
                                        ; implicit-def: $vgpr16_vgpr17
                                        ; implicit-def: $vgpr14_vgpr15
.LBB5_104:                              ;   in Loop: Header=BB5_101 Depth=2
	s_andn2_saveexec_b64 s[56:57], s[56:57]
	s_cbranch_execz .LBB5_106
; %bb.105:                              ;   in Loop: Header=BB5_101 Depth=2
	v_div_scale_f32 v5, s[58:59], v16, v16, v17
	v_rcp_f32_e32 v9, v5
	v_div_scale_f32 v18, vcc, v17, v16, v17
	v_fma_f32 v19, -v5, v9, 1.0
	v_fmac_f32_e32 v9, v19, v9
	v_mul_f32_e32 v19, v18, v9
	v_fma_f32 v20, -v5, v19, v18
	v_fmac_f32_e32 v19, v20, v9
	v_fma_f32 v5, -v5, v19, v18
	v_div_fmas_f32 v5, v5, v9, v19
	v_div_fixup_f32 v18, v5, v16, v17
	v_fmac_f32_e32 v16, v17, v18
	v_div_scale_f32 v5, s[58:59], v16, v16, 1.0
	v_rcp_f32_e32 v9, v5
	s_nop 0
	v_fma_f32 v17, -v5, v9, 1.0
	v_fmac_f32_e32 v9, v17, v9
	v_div_scale_f32 v17, vcc, 1.0, v16, 1.0
	v_mul_f32_e32 v19, v17, v9
	v_fma_f32 v20, -v5, v19, v17
	v_fmac_f32_e32 v19, v20, v9
	v_fma_f32 v5, -v5, v19, v17
	v_div_fmas_f32 v5, v5, v9, v19
	s_waitcnt lgkmcnt(0)
	v_pk_fma_f32 v[20:21], v[18:19], v[14:15], v[14:15] op_sel:[0,1,0] op_sel_hi:[1,0,1]
	v_pk_fma_f32 v[14:15], v[18:19], v[14:15], v[14:15] op_sel:[0,1,0] op_sel_hi:[0,0,1] neg_lo:[1,0,0] neg_hi:[1,0,0]
	v_div_fixup_f32 v16, v5, v16, 1.0
	v_mov_b32_e32 v21, v15
	v_pk_mul_f32 v[18:19], v[16:17], v[20:21] op_sel_hi:[0,1]
.LBB5_106:                              ;   in Loop: Header=BB5_101 Depth=2
	s_or_b64 exec, exec, s[56:57]
	ds_write_b64 v2, v[18:19]
.LBB5_107:                              ;   in Loop: Header=BB5_101 Depth=2
	s_or_b64 exec, exec, s[54:55]
	v_cmp_lt_u32_e32 vcc, s46, v0
	s_waitcnt lgkmcnt(0)
	s_barrier
	s_and_saveexec_b64 s[54:55], vcc
	s_cbranch_execz .LBB5_100
; %bb.108:                              ;   in Loop: Header=BB5_101 Depth=2
	s_add_i32 s56, s44, s46
	s_cmp_lt_i32 s56, s13
	s_cselect_b64 s[56:57], -1, 0
	s_and_b64 s[56:57], s[48:49], s[56:57]
	s_and_b64 exec, exec, s[56:57]
	s_cbranch_execz .LBB5_100
; %bb.109:                              ;   in Loop: Header=BB5_101 Depth=2
	s_lshl_b64 s[56:57], s[50:51], 2
	s_and_b32 s56, s56, -8
	v_lshl_add_u64 v[14:15], v[12:13], 0, s[56:57]
	global_load_dwordx2 v[14:15], v[14:15], off
	v_mov_b32_e32 v5, s33
	ds_read_b64 v[16:17], v5
	ds_read_b64 v[18:19], v2
	s_waitcnt vmcnt(0) lgkmcnt(1)
	v_pk_mul_f32 v[20:21], v[16:17], v[14:15] op_sel:[1,1] op_sel_hi:[0,1]
	v_pk_fma_f32 v[22:23], v[16:17], v[14:15], v[20:21] neg_lo:[0,0,1] neg_hi:[0,0,1]
	v_pk_fma_f32 v[14:15], v[16:17], v[14:15], v[20:21] op_sel_hi:[1,0,1]
	s_nop 0
	v_mov_b32_e32 v23, v15
	s_waitcnt lgkmcnt(0)
	v_pk_add_f32 v[14:15], v[18:19], v[22:23] neg_lo:[0,1] neg_hi:[0,1]
	ds_write_b64 v2, v[14:15]
	s_branch .LBB5_100
.LBB5_110:                              ;   in Loop: Header=BB5_97 Depth=1
	s_add_u32 s2, s44, 0x200
	s_addc_u32 s3, s45, 0
	s_cmp_ge_i32 s2, s13
	s_cselect_b64 s[46:47], -1, 0
	s_and_b64 vcc, exec, s[46:47]
	s_waitcnt lgkmcnt(0)
	s_barrier
	s_cbranch_vccnz .LBB5_129
; %bb.111:                              ;   in Loop: Header=BB5_97 Depth=1
	v_ashrrev_i32_e32 v9, 31, v8
	v_lshl_add_u64 v[10:11], s[38:39], 0, v[8:9]
	v_lshlrev_b64 v[12:13], 3, v[10:11]
	s_mov_b32 s33, s2
	v_lshl_add_u64 v[10:11], s[18:19], 0, v[12:13]
	v_lshl_add_u64 v[12:13], s[16:17], 0, v[12:13]
	s_mov_b64 s[48:49], 0
	v_mov_b64_e32 v[14:15], v[0:1]
                                        ; implicit-def: $sgpr50_sgpr51
	s_branch .LBB5_114
.LBB5_112:                              ;   in Loop: Header=BB5_114 Depth=2
	v_mad_u64_u32 v[18:19], s[54:55], s6, v9, 0
	v_mov_b32_e32 v20, v19
	v_mad_u64_u32 v[20:21], s[54:55], s7, v9, v[20:21]
	v_mov_b32_e32 v19, v20
	v_lshl_add_u64 v[18:19], v[18:19], 3, s[4:5]
	global_load_dwordx2 v[20:21], v[18:19], off
	s_addk_i32 s33, 0x200
	s_cmp_ge_i32 s33, s13
	s_cselect_b64 s[54:55], -1, 0
	s_andn2_b64 s[50:51], s[50:51], exec
	s_and_b64 s[54:55], s[54:55], exec
	v_lshl_add_u64 v[10:11], v[10:11], 0, s[34:35]
	v_lshl_add_u64 v[12:13], v[12:13], 0, s[34:35]
	s_or_b64 s[50:51], s[50:51], s[54:55]
	s_waitcnt vmcnt(0)
	v_pk_add_f32 v[16:17], v[20:21], v[16:17] neg_lo:[0,1] neg_hi:[0,1]
	global_store_dwordx2 v[18:19], v[16:17], off
.LBB5_113:                              ;   in Loop: Header=BB5_114 Depth=2
	s_or_b64 exec, exec, s[52:53]
	s_and_b64 s[52:53], exec, s[50:51]
	s_or_b64 s[48:49], s[52:53], s[48:49]
	s_andn2_b64 exec, exec, s[48:49]
	s_cbranch_execz .LBB5_128
.LBB5_114:                              ;   Parent Loop BB5_97 Depth=1
                                        ; =>  This Loop Header: Depth=2
                                        ;       Child Loop BB5_116 Depth 3
	v_add_u32_e32 v9, s33, v0
	v_cmp_gt_i32_e32 vcc, s13, v9
	s_or_b64 s[50:51], s[50:51], exec
	s_and_saveexec_b64 s[52:53], vcc
	s_cbranch_execz .LBB5_113
; %bb.115:                              ;   in Loop: Header=BB5_114 Depth=2
	v_mov_b32_e32 v5, v4
	v_lshl_add_u64 v[18:19], v[14:15], 0, s[30:31]
	v_lshl_add_u64 v[14:15], v[14:15], 0, s[28:29]
	s_mov_b64 s[54:55], 0
	s_mov_b32 s45, 0
	s_mov_b64 s[56:57], s[26:27]
	s_mov_b64 s[60:61], s[24:25]
	v_mov_b64_e32 v[20:21], v[12:13]
	s_mov_b64 s[58:59], s[20:21]
	s_mov_b64 s[62:63], s[22:23]
	v_mov_b64_e32 v[22:23], v[10:11]
	v_mov_b64_e32 v[16:17], v[4:5]
.LBB5_116:                              ;   Parent Loop BB5_97 Depth=1
                                        ;     Parent Loop BB5_114 Depth=2
                                        ; =>    This Inner Loop Header: Depth=3
	v_cmp_ne_u32_e32 vcc, s54, v14
	s_xor_b64 s[64:65], s[8:9], -1
	s_add_u32 s68, s44, s54
	s_or_b64 s[66:67], s[64:65], vcc
	s_and_saveexec_b64 s[70:71], s[66:67]
	s_xor_b64 s[66:67], exec, s[70:71]
	s_cbranch_execz .LBB5_119
; %bb.117:                              ;   in Loop: Header=BB5_116 Depth=3
	s_cmp_ge_i32 s68, s13
	s_cbranch_scc1 .LBB5_119
; %bb.118:                              ;   in Loop: Header=BB5_116 Depth=3
	s_lshl_b64 s[70:71], s[56:57], 2
	s_and_b32 s70, s70, -8
	v_lshl_add_u64 v[24:25], v[20:21], 0, s[70:71]
	global_load_dwordx2 v[24:25], v[24:25], off
	v_mov_b32_e32 v5, s45
	ds_read_b64 v[26:27], v5
	s_waitcnt vmcnt(0) lgkmcnt(0)
	v_pk_mul_f32 v[28:29], v[26:27], v[24:25] op_sel:[1,1] op_sel_hi:[0,1]
	v_pk_fma_f32 v[30:31], v[26:27], v[24:25], v[28:29] neg_lo:[0,0,1] neg_hi:[0,0,1]
	v_pk_fma_f32 v[24:25], v[26:27], v[24:25], v[28:29] op_sel_hi:[1,0,1]
	s_nop 0
	v_mov_b32_e32 v31, v25
	v_pk_add_f32 v[16:17], v[16:17], v[30:31]
.LBB5_119:                              ;   in Loop: Header=BB5_116 Depth=3
	s_andn2_saveexec_b64 s[66:67], s[66:67]
	s_cbranch_execz .LBB5_121
; %bb.120:                              ;   in Loop: Header=BB5_116 Depth=3
	v_mov_b32_e32 v5, s45
	ds_read_b64 v[24:25], v5
	s_waitcnt lgkmcnt(0)
	v_pk_add_f32 v[16:17], v[16:17], v[24:25]
.LBB5_121:                              ;   in Loop: Header=BB5_116 Depth=3
	s_or_b64 exec, exec, s[66:67]
	v_cmp_ne_u32_e32 vcc, s54, v18
	s_or_b64 s[64:65], s[64:65], vcc
	s_and_saveexec_b64 s[66:67], s[64:65]
	s_xor_b64 s[64:65], exec, s[66:67]
	s_cbranch_execz .LBB5_124
; %bb.122:                              ;   in Loop: Header=BB5_116 Depth=3
	s_add_i32 s68, s68, 1
	s_cmp_ge_i32 s68, s13
	s_cbranch_scc1 .LBB5_124
; %bb.123:                              ;   in Loop: Header=BB5_116 Depth=3
	s_lshl_b64 s[66:67], s[58:59], 2
	s_and_b32 s66, s66, -8
	v_lshl_add_u64 v[24:25], v[22:23], 0, s[66:67]
	global_load_dwordx2 v[24:25], v[24:25], off
	v_mov_b32_e32 v5, s45
	ds_read_b64 v[26:27], v5 offset:8
	s_waitcnt vmcnt(0) lgkmcnt(0)
	v_pk_mul_f32 v[28:29], v[26:27], v[24:25] op_sel:[1,1] op_sel_hi:[0,1]
	v_pk_fma_f32 v[30:31], v[26:27], v[24:25], v[28:29] neg_lo:[0,0,1] neg_hi:[0,0,1]
	v_pk_fma_f32 v[24:25], v[26:27], v[24:25], v[28:29] op_sel_hi:[1,0,1]
	s_nop 0
	v_mov_b32_e32 v31, v25
	v_pk_add_f32 v[16:17], v[16:17], v[30:31]
.LBB5_124:                              ;   in Loop: Header=BB5_116 Depth=3
	s_andn2_saveexec_b64 s[64:65], s[64:65]
	s_cbranch_execz .LBB5_126
; %bb.125:                              ;   in Loop: Header=BB5_116 Depth=3
	v_mov_b32_e32 v5, s45
	ds_read_b64 v[24:25], v5 offset:8
	s_waitcnt lgkmcnt(0)
	v_pk_add_f32 v[16:17], v[16:17], v[24:25]
.LBB5_126:                              ;   in Loop: Header=BB5_116 Depth=3
	s_or_b64 exec, exec, s[64:65]
	s_add_u32 s54, s54, 2
	s_addc_u32 s55, s55, 0
	s_add_i32 s45, s45, 16
	s_add_u32 s64, s62, -8
	s_addc_u32 s65, s63, -1
	s_add_u32 s58, s58, s62
	s_addc_u32 s59, s59, s63
	s_add_u32 s62, s60, -8
	s_addc_u32 s63, s61, -1
	s_add_u32 s56, s56, s60
	s_addc_u32 s57, s57, s61
	v_lshl_add_u64 v[22:23], v[22:23], 0, -16
	s_cmpk_eq_i32 s54, 0x200
	v_lshl_add_u64 v[20:21], v[20:21], 0, -16
	s_cbranch_scc1 .LBB5_112
; %bb.127:                              ;   in Loop: Header=BB5_116 Depth=3
	s_mov_b64 s[60:61], s[62:63]
	s_mov_b64 s[62:63], s[64:65]
	s_branch .LBB5_116
.LBB5_128:                              ;   in Loop: Header=BB5_97 Depth=1
	s_or_b64 exec, exec, s[48:49]
.LBB5_129:                              ;   in Loop: Header=BB5_97 Depth=1
	s_and_saveexec_b64 s[44:45], s[0:1]
	s_cbranch_execz .LBB5_96
; %bb.130:                              ;   in Loop: Header=BB5_97 Depth=1
	v_mad_u64_u32 v[10:11], s[0:1], s6, v3, 0
	ds_read_b64 v[14:15], v2
	v_mov_b32_e32 v12, v11
	v_mad_u64_u32 v[12:13], s[0:1], s7, v3, v[12:13]
	v_mov_b32_e32 v11, v12
	v_lshl_add_u64 v[10:11], v[10:11], 3, s[4:5]
	s_waitcnt lgkmcnt(0)
	global_store_dwordx2 v[10:11], v[14:15], off
	s_branch .LBB5_96
.LBB5_131:
	s_mov_b64 s[0:1], 0
.LBB5_132:
	s_andn2_b64 vcc, exec, s[0:1]
	s_cbranch_vccnz .LBB5_166
; %bb.133:
	s_andn2_b64 vcc, exec, s[14:15]
	s_cbranch_vccnz .LBB5_166
; %bb.134:
	v_mov_b32_e32 v1, 0x1000
	v_mov_b32_e32 v3, 0
	s_movk_i32 s18, 0xfe00
	s_add_i32 s37, s13, 0xfffffe00
	v_lshl_or_b32 v22, v0, 3, v1
	s_mov_b32 s33, 0
	s_mov_b32 s36, s13
	v_mov_b32_e32 v1, v3
	s_mov_b64 s[12:13], 0xfffffdff
	s_mov_b64 s[14:15], 0xfffffe00
	s_xor_b64 s[16:17], s[8:9], -1
	s_mov_b32 s19, -1
	s_branch .LBB5_136
.LBB5_135:                              ;   in Loop: Header=BB5_136 Depth=1
	s_or_b64 exec, exec, s[20:21]
	s_add_u32 s36, s36, 0xfffffe00
	s_addc_u32 s33, s33, -1
	s_and_b64 vcc, exec, s[2:3]
	s_mov_b32 s37, s38
	s_barrier
	s_cbranch_vccnz .LBB5_166
.LBB5_136:                              ; =>This Loop Header: Depth=1
                                        ;     Child Loop BB5_140 Depth 2
                                        ;     Child Loop BB5_152 Depth 2
                                        ;       Child Loop BB5_155 Depth 3
	v_add_u32_e32 v4, s37, v0
	v_cmp_gt_i32_e32 vcc, 0, v4
	v_cmp_lt_i32_e64 s[0:1], -1, v4
	v_mov_b32_e32 v5, v3
	s_and_saveexec_b64 s[2:3], s[0:1]
	s_cbranch_execz .LBB5_138
; %bb.137:                              ;   in Loop: Header=BB5_136 Depth=1
	v_mad_u64_u32 v[6:7], s[20:21], s6, v4, 0
	v_mov_b32_e32 v2, v7
	v_mad_u64_u32 v[8:9], s[20:21], s7, v4, v[2:3]
	v_mov_b32_e32 v7, v8
	v_lshl_add_u64 v[6:7], v[6:7], 3, s[4:5]
	global_load_dwordx2 v[6:7], v[6:7], off
	s_waitcnt vmcnt(0)
	ds_write_b64 v22, v[6:7]
.LBB5_138:                              ;   in Loop: Header=BB5_136 Depth=1
	s_or_b64 exec, exec, s[2:3]
	v_add_u32_e32 v2, 1, v4
	v_mad_u64_u32 v[8:9], s[2:3], v4, v2, 0
	v_lshlrev_b64 v[8:9], 2, v[8:9]
	v_ashrrev_i32_e32 v7, 31, v4
	v_mov_b32_e32 v6, v4
	v_lshl_add_u64 v[10:11], v[4:5], 3, s[10:11]
	v_and_b32_e32 v8, -8, v8
	s_or_b64 s[2:3], s[8:9], vcc
	v_lshl_add_u64 v[6:7], v[6:7], 3, s[10:11]
	v_lshl_add_u64 v[8:9], v[10:11], 0, v[8:9]
	s_movk_i32 s24, 0x1ff
	s_movk_i32 s25, 0x1ff8
	s_xor_b64 s[20:21], s[2:3], -1
	s_waitcnt lgkmcnt(0)
	s_barrier
	s_branch .LBB5_140
.LBB5_139:                              ;   in Loop: Header=BB5_140 Depth=2
	s_or_b64 exec, exec, s[2:3]
	s_add_i32 s24, s24, -1
	s_add_i32 s25, s25, -8
	s_cmp_eq_u32 s24, -1
	s_cbranch_scc1 .LBB5_148
.LBB5_140:                              ;   Parent Loop BB5_136 Depth=1
                                        ; =>  This Inner Loop Header: Depth=2
	v_cmp_eq_u32_e32 vcc, s24, v0
	s_and_b64 s[22:23], vcc, s[20:21]
	s_and_saveexec_b64 s[2:3], s[22:23]
	s_cbranch_execz .LBB5_146
; %bb.141:                              ;   in Loop: Header=BB5_140 Depth=2
	global_load_dwordx2 v[12:13], v[8:9], off
	ds_read_b64 v[10:11], v22
                                        ; implicit-def: $vgpr14_vgpr15
	s_waitcnt vmcnt(0)
	v_cmp_ngt_f32_e64 s[22:23], |v12|, |v13|
	s_and_saveexec_b64 s[26:27], s[22:23]
	s_xor_b64 s[22:23], exec, s[26:27]
	s_cbranch_execz .LBB5_143
; %bb.142:                              ;   in Loop: Header=BB5_140 Depth=2
	v_div_scale_f32 v2, s[26:27], v13, v13, v12
	v_rcp_f32_e32 v5, v2
	v_div_scale_f32 v14, vcc, v12, v13, v12
	v_fma_f32 v15, -v2, v5, 1.0
	v_fmac_f32_e32 v5, v15, v5
	v_mul_f32_e32 v15, v14, v5
	v_fma_f32 v16, -v2, v15, v14
	v_fmac_f32_e32 v15, v16, v5
	v_fma_f32 v2, -v2, v15, v14
	v_div_fmas_f32 v2, v2, v5, v15
	v_div_fixup_f32 v2, v2, v13, v12
	v_fmac_f32_e32 v13, v12, v2
	v_div_scale_f32 v5, s[26:27], v13, v13, 1.0
	v_rcp_f32_e32 v12, v5
	s_nop 0
	v_fma_f32 v14, -v5, v12, 1.0
	v_fmac_f32_e32 v12, v14, v12
	v_div_scale_f32 v14, vcc, 1.0, v13, 1.0
	v_mul_f32_e32 v15, v14, v12
	v_fma_f32 v16, -v5, v15, v14
	v_fmac_f32_e32 v15, v16, v12
	v_fma_f32 v5, -v5, v15, v14
	v_div_fmas_f32 v5, v5, v12, v15
	s_waitcnt lgkmcnt(0)
	v_pk_fma_f32 v[14:15], v[2:3], v[10:11], v[10:11] op_sel:[0,0,1] op_sel_hi:[1,1,0]
	v_pk_fma_f32 v[10:11], v[2:3], v[10:11], v[10:11] op_sel:[0,0,1] op_sel_hi:[0,1,0] neg_lo:[0,0,1] neg_hi:[0,0,1]
	v_div_fixup_f32 v12, v5, v13, 1.0
	v_mov_b32_e32 v15, v11
	v_pk_mul_f32 v[14:15], v[12:13], v[14:15] op_sel_hi:[0,1]
                                        ; implicit-def: $vgpr12_vgpr13
                                        ; implicit-def: $vgpr10_vgpr11
.LBB5_143:                              ;   in Loop: Header=BB5_140 Depth=2
	s_andn2_saveexec_b64 s[22:23], s[22:23]
	s_cbranch_execz .LBB5_145
; %bb.144:                              ;   in Loop: Header=BB5_140 Depth=2
	v_div_scale_f32 v2, s[26:27], v12, v12, v13
	v_rcp_f32_e32 v5, v2
	v_div_scale_f32 v14, vcc, v13, v12, v13
	v_fma_f32 v15, -v2, v5, 1.0
	v_fmac_f32_e32 v5, v15, v5
	v_mul_f32_e32 v15, v14, v5
	v_fma_f32 v16, -v2, v15, v14
	v_fmac_f32_e32 v15, v16, v5
	v_fma_f32 v2, -v2, v15, v14
	v_div_fmas_f32 v2, v2, v5, v15
	v_div_fixup_f32 v2, v2, v12, v13
	v_fmac_f32_e32 v12, v13, v2
	v_div_scale_f32 v5, s[26:27], v12, v12, 1.0
	v_rcp_f32_e32 v13, v5
	s_nop 0
	v_fma_f32 v14, -v5, v13, 1.0
	v_fmac_f32_e32 v13, v14, v13
	v_div_scale_f32 v14, vcc, 1.0, v12, 1.0
	v_mul_f32_e32 v15, v14, v13
	v_fma_f32 v16, -v5, v15, v14
	v_fmac_f32_e32 v15, v16, v13
	v_fma_f32 v5, -v5, v15, v14
	v_div_fmas_f32 v5, v5, v13, v15
	s_waitcnt lgkmcnt(0)
	v_pk_fma_f32 v[14:15], v[2:3], v[10:11], v[10:11] op_sel:[0,1,0] op_sel_hi:[1,0,1]
	v_pk_fma_f32 v[10:11], v[2:3], v[10:11], v[10:11] op_sel:[0,1,0] op_sel_hi:[0,0,1] neg_lo:[1,0,0] neg_hi:[1,0,0]
	v_div_fixup_f32 v12, v5, v12, 1.0
	v_mov_b32_e32 v15, v11
	v_pk_mul_f32 v[14:15], v[12:13], v[14:15] op_sel_hi:[0,1]
.LBB5_145:                              ;   in Loop: Header=BB5_140 Depth=2
	s_or_b64 exec, exec, s[22:23]
	ds_write_b64 v22, v[14:15]
.LBB5_146:                              ;   in Loop: Header=BB5_140 Depth=2
	s_or_b64 exec, exec, s[2:3]
	s_add_i32 s23, s36, s24
	s_add_i32 s22, s23, 0xfffffe00
	v_or_b32_e32 v2, s22, v4
	v_cmp_gt_u32_e32 vcc, s24, v0
	v_cmp_lt_i32_e64 s[2:3], -1, v2
	s_and_b64 s[26:27], vcc, s[2:3]
	s_waitcnt lgkmcnt(0)
	s_barrier
	s_and_saveexec_b64 s[2:3], s[26:27]
	s_cbranch_execz .LBB5_139
; %bb.147:                              ;   in Loop: Header=BB5_140 Depth=2
	s_add_i32 s26, s23, 0xfffffe01
	s_mul_hi_u32 s23, s26, s22
	s_mul_i32 s22, s26, s22
	s_lshl_b64 s[22:23], s[22:23], 2
	s_and_b32 s22, s22, -8
	v_lshl_add_u64 v[10:11], v[6:7], 0, s[22:23]
	global_load_dwordx2 v[10:11], v[10:11], off
	v_mov_b32_e32 v2, s25
	ds_read_b64 v[12:13], v2
	ds_read_b64 v[14:15], v22
	s_waitcnt vmcnt(0) lgkmcnt(1)
	v_pk_mul_f32 v[16:17], v[12:13], v[10:11] op_sel:[1,1] op_sel_hi:[0,1]
	v_pk_fma_f32 v[18:19], v[12:13], v[10:11], v[16:17] neg_lo:[0,0,1] neg_hi:[0,0,1]
	v_pk_fma_f32 v[10:11], v[12:13], v[10:11], v[16:17] op_sel_hi:[1,0,1]
	s_nop 0
	v_mov_b32_e32 v19, v11
	s_waitcnt lgkmcnt(0)
	v_pk_add_f32 v[10:11], v[14:15], v[18:19] neg_lo:[0,1] neg_hi:[0,1]
	ds_write_b64 v22, v[10:11]
	s_branch .LBB5_139
.LBB5_148:                              ;   in Loop: Header=BB5_136 Depth=1
	s_add_i32 s38, s37, 0xfffffe00
	s_cmp_lt_i32 s37, 1
	s_cselect_b64 s[2:3], -1, 0
	s_and_b64 vcc, exec, s[2:3]
	s_waitcnt lgkmcnt(0)
	s_barrier
	s_cbranch_vccnz .LBB5_164
; %bb.149:                              ;   in Loop: Header=BB5_136 Depth=1
	s_mov_b64 s[20:21], 0
	v_mov_b64_e32 v[6:7], v[0:1]
	s_mov_b32 s39, s38
                                        ; implicit-def: $sgpr22_sgpr23
	s_branch .LBB5_152
.LBB5_150:                              ;   in Loop: Header=BB5_152 Depth=2
	v_mad_u64_u32 v[10:11], s[26:27], s6, v2, 0
	v_mov_b32_e32 v12, v11
	v_mad_u64_u32 v[12:13], s[26:27], s7, v2, v[12:13]
	v_mov_b32_e32 v11, v12
	v_lshl_add_u64 v[10:11], v[10:11], 3, s[4:5]
	global_load_dwordx2 v[12:13], v[10:11], off
	s_add_i32 s28, s39, 0xfffffe00
	s_cmp_lt_i32 s39, 1
	s_cselect_b64 s[26:27], -1, 0
	s_andn2_b64 s[22:23], s[22:23], exec
	s_and_b64 s[26:27], s[26:27], exec
	v_lshl_add_u64 v[6:7], v[6:7], 0, s[18:19]
	s_or_b64 s[22:23], s[22:23], s[26:27]
	s_mov_b32 s39, s28
	s_waitcnt vmcnt(0)
	v_pk_add_f32 v[8:9], v[12:13], v[8:9] neg_lo:[0,1] neg_hi:[0,1]
	global_store_dwordx2 v[10:11], v[8:9], off
.LBB5_151:                              ;   in Loop: Header=BB5_152 Depth=2
	s_or_b64 exec, exec, s[24:25]
	s_and_b64 s[24:25], exec, s[22:23]
	s_or_b64 s[20:21], s[24:25], s[20:21]
	s_andn2_b64 exec, exec, s[20:21]
	s_cbranch_execz .LBB5_163
.LBB5_152:                              ;   Parent Loop BB5_136 Depth=1
                                        ; =>  This Loop Header: Depth=2
                                        ;       Child Loop BB5_155 Depth 3
	v_add_u32_e32 v2, s39, v0
	v_cmp_lt_i32_e32 vcc, -1, v2
	s_or_b64 s[22:23], s[22:23], exec
	s_and_saveexec_b64 s[24:25], vcc
	s_cbranch_execz .LBB5_151
; %bb.153:                              ;   in Loop: Header=BB5_152 Depth=2
	v_mov_b32_e32 v8, 0
	v_lshl_add_u64 v[10:11], v[2:3], 3, s[10:11]
	v_lshl_add_u64 v[12:13], v[6:7], 0, s[12:13]
	;; [unrolled: 1-line block ×3, first 2 shown]
	s_movk_i32 s40, 0x1000
	s_mov_b64 s[26:27], 0
	v_mov_b32_e32 v9, v8
	s_branch .LBB5_155
.LBB5_154:                              ;   in Loop: Header=BB5_155 Depth=3
	s_or_b64 exec, exec, s[28:29]
	s_add_i32 s40, s40, 16
	s_add_u32 s26, s26, 2
	s_waitcnt lgkmcnt(0)
	v_pk_add_f32 v[8:9], v[8:9], v[16:17]
	s_addc_u32 s27, s27, 0
	s_cmpk_eq_i32 s26, 0x200
	v_pk_add_f32 v[8:9], v[8:9], v[18:19]
	s_cbranch_scc1 .LBB5_150
.LBB5_155:                              ;   Parent Loop BB5_136 Depth=1
                                        ;     Parent Loop BB5_152 Depth=2
                                        ; =>    This Inner Loop Header: Depth=3
	v_cmp_ne_u32_e32 vcc, s26, v14
	s_or_b64 s[34:35], s[16:17], vcc
                                        ; implicit-def: $vgpr17
                                        ; implicit-def: $sgpr28_sgpr29
                                        ; implicit-def: $sgpr30_sgpr31
	s_and_saveexec_b64 s[42:43], s[34:35]
	s_xor_b64 s[34:35], exec, s[42:43]
	s_cbranch_execz .LBB5_157
; %bb.156:                              ;   in Loop: Header=BB5_155 Depth=3
	s_add_u32 s28, s36, s26
	s_addc_u32 s29, s33, s27
	s_add_u32 s30, s28, 0xfffffe01
	s_addc_u32 s31, s29, 0
	;; [unrolled: 2-line block ×3, first 2 shown]
	s_mul_i32 s42, s30, s42
	s_mul_hi_u32 s43, s30, s41
	s_add_i32 s43, s43, s42
	s_mul_i32 s42, s30, s41
	s_lshl_b64 s[42:43], s[42:43], 2
	s_and_b32 s42, s42, -8
	v_lshl_add_u64 v[16:17], v[10:11], 0, s[42:43]
	global_load_dwordx2 v[16:17], v[16:17], off
	v_mov_b32_e32 v5, s40
	ds_read_b64 v[18:19], v5
	s_waitcnt vmcnt(0) lgkmcnt(0)
	v_pk_mul_f32 v[20:21], v[18:19], v[16:17] op_sel:[1,1] op_sel_hi:[0,1]
	v_pk_mul_f32 v[24:25], v[18:19], v[16:17] op_sel_hi:[1,0]
	v_pk_fma_f32 v[16:17], v[18:19], v[16:17], v[20:21] op_sel_hi:[1,0,1]
	s_nop 0
	v_sub_f32_e32 v16, v24, v20
.LBB5_157:                              ;   in Loop: Header=BB5_155 Depth=3
	s_or_saveexec_b64 s[34:35], s[34:35]
	v_mov_b64_e32 v[18:19], s[30:31]
	v_mov_b64_e32 v[20:21], s[28:29]
	s_xor_b64 exec, exec, s[34:35]
	s_cbranch_execz .LBB5_159
; %bb.158:                              ;   in Loop: Header=BB5_155 Depth=3
	v_mov_b32_e32 v5, s40
	ds_read_b64 v[16:17], v5
	s_add_u32 s28, s36, s26
	s_addc_u32 s29, s33, s27
	s_add_u32 s30, s28, 0xfffffe01
	s_addc_u32 s31, s29, 0
	v_mov_b64_e32 v[18:19], s[30:31]
	v_mov_b64_e32 v[20:21], s[28:29]
.LBB5_159:                              ;   in Loop: Header=BB5_155 Depth=3
	s_or_b64 exec, exec, s[34:35]
	v_cmp_ne_u32_e32 vcc, s26, v12
	s_or_b64 s[28:29], s[16:17], vcc
                                        ; implicit-def: $vgpr19
	s_and_saveexec_b64 s[30:31], s[28:29]
	s_xor_b64 s[28:29], exec, s[30:31]
	s_cbranch_execz .LBB5_161
; %bb.160:                              ;   in Loop: Header=BB5_155 Depth=3
	v_add_u32_e32 v5, 0xfffffe02, v20
	v_mad_u64_u32 v[18:19], s[30:31], v5, v18, 0
	v_lshlrev_b64 v[18:19], 2, v[18:19]
	v_and_b32_e32 v18, -8, v18
	v_lshl_add_u64 v[18:19], v[10:11], 0, v[18:19]
	global_load_dwordx2 v[18:19], v[18:19], off
	v_mov_b32_e32 v5, s40
	ds_read_b64 v[20:21], v5 offset:8
	s_waitcnt vmcnt(0) lgkmcnt(0)
	v_pk_mul_f32 v[24:25], v[20:21], v[18:19] op_sel:[1,1] op_sel_hi:[0,1]
	v_pk_mul_f32 v[26:27], v[20:21], v[18:19] op_sel_hi:[1,0]
	v_pk_fma_f32 v[18:19], v[20:21], v[18:19], v[24:25] op_sel_hi:[1,0,1]
	s_nop 0
	v_sub_f32_e32 v18, v26, v24
.LBB5_161:                              ;   in Loop: Header=BB5_155 Depth=3
	s_andn2_saveexec_b64 s[28:29], s[28:29]
	s_cbranch_execz .LBB5_154
; %bb.162:                              ;   in Loop: Header=BB5_155 Depth=3
	v_mov_b32_e32 v5, s40
	ds_read_b64 v[18:19], v5 offset:8
	s_branch .LBB5_154
.LBB5_163:                              ;   in Loop: Header=BB5_136 Depth=1
	s_or_b64 exec, exec, s[20:21]
.LBB5_164:                              ;   in Loop: Header=BB5_136 Depth=1
	s_and_saveexec_b64 s[20:21], s[0:1]
	s_cbranch_execz .LBB5_135
; %bb.165:                              ;   in Loop: Header=BB5_136 Depth=1
	v_mad_u64_u32 v[6:7], s[0:1], s6, v4, 0
	ds_read_b64 v[8:9], v22
	v_mov_b32_e32 v2, v7
	v_mad_u64_u32 v[4:5], s[0:1], s7, v4, v[2:3]
	v_mov_b32_e32 v7, v4
	v_lshl_add_u64 v[4:5], v[6:7], 3, s[4:5]
	s_waitcnt lgkmcnt(0)
	global_store_dwordx2 v[4:5], v[8:9], off
	s_branch .LBB5_135
.LBB5_166:
	s_endpgm
	.section	.rodata,"a",@progbits
	.p2align	6, 0x0
	.amdhsa_kernel _ZL19rocblas_tpsv_kernelILb0ELi512EPK19rocblas_complex_numIfEPS1_Ev18rocblas_operation_bbiT1_llT2_lll
		.amdhsa_group_segment_fixed_size 8192
		.amdhsa_private_segment_fixed_size 0
		.amdhsa_kernarg_size 72
		.amdhsa_user_sgpr_count 2
		.amdhsa_user_sgpr_dispatch_ptr 0
		.amdhsa_user_sgpr_queue_ptr 0
		.amdhsa_user_sgpr_kernarg_segment_ptr 1
		.amdhsa_user_sgpr_dispatch_id 0
		.amdhsa_user_sgpr_kernarg_preload_length 0
		.amdhsa_user_sgpr_kernarg_preload_offset 0
		.amdhsa_user_sgpr_private_segment_size 0
		.amdhsa_uses_dynamic_stack 0
		.amdhsa_enable_private_segment 0
		.amdhsa_system_sgpr_workgroup_id_x 1
		.amdhsa_system_sgpr_workgroup_id_y 0
		.amdhsa_system_sgpr_workgroup_id_z 0
		.amdhsa_system_sgpr_workgroup_info 0
		.amdhsa_system_vgpr_workitem_id 0
		.amdhsa_next_free_vgpr 32
		.amdhsa_next_free_sgpr 72
		.amdhsa_accum_offset 32
		.amdhsa_reserve_vcc 1
		.amdhsa_float_round_mode_32 0
		.amdhsa_float_round_mode_16_64 0
		.amdhsa_float_denorm_mode_32 3
		.amdhsa_float_denorm_mode_16_64 3
		.amdhsa_dx10_clamp 1
		.amdhsa_ieee_mode 1
		.amdhsa_fp16_overflow 0
		.amdhsa_tg_split 0
		.amdhsa_exception_fp_ieee_invalid_op 0
		.amdhsa_exception_fp_denorm_src 0
		.amdhsa_exception_fp_ieee_div_zero 0
		.amdhsa_exception_fp_ieee_overflow 0
		.amdhsa_exception_fp_ieee_underflow 0
		.amdhsa_exception_fp_ieee_inexact 0
		.amdhsa_exception_int_div_zero 0
	.end_amdhsa_kernel
	.section	.text._ZL19rocblas_tpsv_kernelILb0ELi512EPK19rocblas_complex_numIfEPS1_Ev18rocblas_operation_bbiT1_llT2_lll,"axG",@progbits,_ZL19rocblas_tpsv_kernelILb0ELi512EPK19rocblas_complex_numIfEPS1_Ev18rocblas_operation_bbiT1_llT2_lll,comdat
.Lfunc_end5:
	.size	_ZL19rocblas_tpsv_kernelILb0ELi512EPK19rocblas_complex_numIfEPS1_Ev18rocblas_operation_bbiT1_llT2_lll, .Lfunc_end5-_ZL19rocblas_tpsv_kernelILb0ELi512EPK19rocblas_complex_numIfEPS1_Ev18rocblas_operation_bbiT1_llT2_lll
                                        ; -- End function
	.set _ZL19rocblas_tpsv_kernelILb0ELi512EPK19rocblas_complex_numIfEPS1_Ev18rocblas_operation_bbiT1_llT2_lll.num_vgpr, 32
	.set _ZL19rocblas_tpsv_kernelILb0ELi512EPK19rocblas_complex_numIfEPS1_Ev18rocblas_operation_bbiT1_llT2_lll.num_agpr, 0
	.set _ZL19rocblas_tpsv_kernelILb0ELi512EPK19rocblas_complex_numIfEPS1_Ev18rocblas_operation_bbiT1_llT2_lll.numbered_sgpr, 72
	.set _ZL19rocblas_tpsv_kernelILb0ELi512EPK19rocblas_complex_numIfEPS1_Ev18rocblas_operation_bbiT1_llT2_lll.num_named_barrier, 0
	.set _ZL19rocblas_tpsv_kernelILb0ELi512EPK19rocblas_complex_numIfEPS1_Ev18rocblas_operation_bbiT1_llT2_lll.private_seg_size, 0
	.set _ZL19rocblas_tpsv_kernelILb0ELi512EPK19rocblas_complex_numIfEPS1_Ev18rocblas_operation_bbiT1_llT2_lll.uses_vcc, 1
	.set _ZL19rocblas_tpsv_kernelILb0ELi512EPK19rocblas_complex_numIfEPS1_Ev18rocblas_operation_bbiT1_llT2_lll.uses_flat_scratch, 0
	.set _ZL19rocblas_tpsv_kernelILb0ELi512EPK19rocblas_complex_numIfEPS1_Ev18rocblas_operation_bbiT1_llT2_lll.has_dyn_sized_stack, 0
	.set _ZL19rocblas_tpsv_kernelILb0ELi512EPK19rocblas_complex_numIfEPS1_Ev18rocblas_operation_bbiT1_llT2_lll.has_recursion, 0
	.set _ZL19rocblas_tpsv_kernelILb0ELi512EPK19rocblas_complex_numIfEPS1_Ev18rocblas_operation_bbiT1_llT2_lll.has_indirect_call, 0
	.section	.AMDGPU.csdata,"",@progbits
; Kernel info:
; codeLenInByte = 7368
; TotalNumSgprs: 78
; NumVgprs: 32
; NumAgprs: 0
; TotalNumVgprs: 32
; ScratchSize: 0
; MemoryBound: 0
; FloatMode: 240
; IeeeMode: 1
; LDSByteSize: 8192 bytes/workgroup (compile time only)
; SGPRBlocks: 9
; VGPRBlocks: 3
; NumSGPRsForWavesPerEU: 78
; NumVGPRsForWavesPerEU: 32
; AccumOffset: 32
; Occupancy: 8
; WaveLimiterHint : 0
; COMPUTE_PGM_RSRC2:SCRATCH_EN: 0
; COMPUTE_PGM_RSRC2:USER_SGPR: 2
; COMPUTE_PGM_RSRC2:TRAP_HANDLER: 0
; COMPUTE_PGM_RSRC2:TGID_X_EN: 1
; COMPUTE_PGM_RSRC2:TGID_Y_EN: 0
; COMPUTE_PGM_RSRC2:TGID_Z_EN: 0
; COMPUTE_PGM_RSRC2:TIDIG_COMP_CNT: 0
; COMPUTE_PGM_RSRC3_GFX90A:ACCUM_OFFSET: 7
; COMPUTE_PGM_RSRC3_GFX90A:TG_SPLIT: 0
	.section	.text._ZL19rocblas_tpsv_kernelILb1ELi512EPK19rocblas_complex_numIdEPS1_Ev18rocblas_operation_bbiT1_llT2_lll,"axG",@progbits,_ZL19rocblas_tpsv_kernelILb1ELi512EPK19rocblas_complex_numIdEPS1_Ev18rocblas_operation_bbiT1_llT2_lll,comdat
	.globl	_ZL19rocblas_tpsv_kernelILb1ELi512EPK19rocblas_complex_numIdEPS1_Ev18rocblas_operation_bbiT1_llT2_lll ; -- Begin function _ZL19rocblas_tpsv_kernelILb1ELi512EPK19rocblas_complex_numIdEPS1_Ev18rocblas_operation_bbiT1_llT2_lll
	.p2align	8
	.type	_ZL19rocblas_tpsv_kernelILb1ELi512EPK19rocblas_complex_numIdEPS1_Ev18rocblas_operation_bbiT1_llT2_lll,@function
_ZL19rocblas_tpsv_kernelILb1ELi512EPK19rocblas_complex_numIdEPS1_Ev18rocblas_operation_bbiT1_llT2_lll: ; @_ZL19rocblas_tpsv_kernelILb1ELi512EPK19rocblas_complex_numIdEPS1_Ev18rocblas_operation_bbiT1_llT2_lll
; %bb.0:
	s_load_dwordx2 s[28:29], s[0:1], 0x0
	s_load_dwordx2 s[12:13], s[0:1], 0x4
	;; [unrolled: 1-line block ×3, first 2 shown]
	s_load_dwordx4 s[24:27], s[0:1], 0x18
	s_load_dwordx2 s[14:15], s[0:1], 0x28
	s_waitcnt lgkmcnt(0)
	s_bitcmp1_b32 s29, 0
	s_cselect_b64 s[4:5], -1, 0
	s_xor_b64 s[20:21], s[4:5], -1
	s_bitcmp1_b32 s12, 8
	s_load_dwordx4 s[4:7], s[0:1], 0x30
	s_load_dwordx2 s[30:31], s[0:1], 0x40
	s_mul_i32 s0, s27, s2
	s_mul_hi_u32 s1, s26, s2
	s_cselect_b64 s[8:9], -1, 0
	s_add_i32 s1, s1, s0
	s_mul_i32 s0, s26, s2
	s_lshl_b64 s[18:19], s[0:1], 4
	s_add_u32 s0, s16, s18
	s_addc_u32 s1, s17, s19
	s_lshl_b64 s[22:23], s[24:25], 4
	s_add_u32 s10, s0, s22
	s_addc_u32 s11, s1, s23
	s_waitcnt lgkmcnt(0)
	s_mul_i32 s0, s31, s2
	s_mul_hi_u32 s1, s30, s2
	s_add_i32 s1, s1, s0
	s_mul_i32 s0, s30, s2
	s_lshl_b64 s[0:1], s[0:1], 4
	s_add_u32 s2, s14, s0
	s_addc_u32 s3, s15, s1
	s_lshl_b64 s[0:1], s[4:5], 4
	s_add_u32 s4, s2, s0
	s_addc_u32 s5, s3, s1
	s_cmp_gt_i32 s13, 0
	s_cselect_b64 s[14:15], -1, 0
	s_cmpk_lg_i32 s28, 0x6f
	s_mov_b64 s[0:1], -1
	s_cbranch_scc0 .LBB6_92
; %bb.1:
	s_and_b64 vcc, exec, s[20:21]
	s_cbranch_vccz .LBB6_44
; %bb.2:
	s_andn2_b64 vcc, exec, s[14:15]
	s_cbranch_vccnz .LBB6_43
; %bb.3:
	s_lshl_b32 s24, s13, 1
	s_add_i32 s40, s13, 0xfffffe00
	s_or_b32 s12, s24, 1
	s_add_u32 s2, s18, s22
	v_lshlrev_b32_e32 v2, 4, v0
	s_addc_u32 s3, s19, s23
	v_or_b32_e32 v1, 0x6000, v2
	v_mov_b32_e32 v3, s3
	v_sub_co_u32_e32 v2, vcc, s2, v2
	s_mov_b64 s[0:1], 0x1ff0
	s_nop 0
	v_subbrev_co_u32_e32 v3, vcc, 0, v3, vcc
	v_lshl_add_u64 v[2:3], s[16:17], 0, v[2:3]
	v_lshl_add_u64 v[18:19], v[2:3], 0, s[0:1]
	s_ashr_i32 s1, s13, 31
	s_mov_b32 s0, s13
	s_lshl_b64 s[0:1], s[0:1], 4
	s_add_u32 s0, s2, s0
	s_addc_u32 s1, s3, s1
	s_add_u32 s0, s16, s0
	v_sub_u32_e32 v2, s13, v0
	s_addc_u32 s1, s17, s1
	v_add_u32_e32 v30, 0x201, v2
	v_add_u32_e32 v2, s13, v0
	s_add_u32 s2, s0, 0xffffe020
	v_add_u32_e32 v31, 0xfffffe00, v2
	s_addc_u32 s3, s1, -1
	v_add_u32_e32 v32, 0xfffffc00, v2
	s_ashr_i32 s33, s24, 31
	s_movk_i32 s42, 0x400
	s_movk_i32 s43, 0x401
	s_movk_i32 s44, 0x402
	s_movk_i32 s45, 0x403
	s_mov_b64 s[24:25], 0x2000
	s_mov_b64 s[26:27], 0x200
	s_xor_b64 s[28:29], s[8:9], -1
	s_branch .LBB6_5
.LBB6_4:                                ;   in Loop: Header=BB6_5 Depth=1
	s_or_b64 exec, exec, s[34:35]
	s_add_u32 s2, s2, 0xffffe000
	v_add_u32_e32 v30, 0x200, v30
	v_add_u32_e32 v31, 0xfffffe00, v31
	s_addc_u32 s3, s3, -1
	v_add_u32_e32 v32, 0xfffffe00, v32
	s_andn2_b64 vcc, exec, s[30:31]
	s_mov_b32 s40, s46
	s_barrier
	s_cbranch_vccz .LBB6_43
.LBB6_5:                                ; =>This Loop Header: Depth=1
                                        ;     Child Loop BB6_9 Depth 2
                                        ;     Child Loop BB6_21 Depth 2
                                        ;       Child Loop BB6_24 Depth 3
	v_add_u32_e32 v33, s40, v0
	v_cmp_gt_i32_e32 vcc, 0, v33
	v_cmp_lt_i32_e64 s[0:1], -1, v33
	s_and_saveexec_b64 s[30:31], s[0:1]
	s_cbranch_execz .LBB6_7
; %bb.6:                                ;   in Loop: Header=BB6_5 Depth=1
	v_mad_u64_u32 v[2:3], s[34:35], s6, v33, 0
	v_mov_b32_e32 v4, v3
	v_mad_u64_u32 v[4:5], s[34:35], s7, v33, v[4:5]
	v_mov_b32_e32 v3, v4
	v_lshl_add_u64 v[2:3], v[2:3], 4, s[4:5]
	global_load_dwordx4 v[2:5], v[2:3], off
	s_waitcnt vmcnt(0)
	ds_write2_b64 v1, v[2:3], v[4:5] offset1:1
.LBB6_7:                                ;   in Loop: Header=BB6_5 Depth=1
	s_or_b64 exec, exec, s[30:31]
	v_mad_u64_u32 v[2:3], s[30:31], v30, v31, 0
	v_ashrrev_i32_e32 v5, 31, v30
	v_mov_b32_e32 v4, v3
	v_mad_u64_u32 v[4:5], s[30:31], v5, v31, v[4:5]
	v_mov_b32_e32 v3, v4
	v_lshlrev_b64 v[2:3], 3, v[2:3]
	v_and_b32_e32 v2, -16, v2
	v_lshl_add_u64 v[14:15], v[18:19], 0, v[2:3]
	s_not_b32 s30, s40
	v_sub_u32_e32 v2, s12, v33
	v_max_i32_e32 v20, s30, v0
	v_ashrrev_i32_e32 v5, 31, v2
	v_mad_u64_u32 v[2:3], s[30:31], v2, v33, 0
	v_mov_b32_e32 v4, v3
	v_mad_u64_u32 v[4:5], s[30:31], v5, v33, v[4:5]
	v_mov_b32_e32 v3, v4
	v_lshlrev_b64 v[2:3], 3, v[2:3]
	v_and_b32_e32 v2, -16, v2
	s_or_b64 s[30:31], vcc, s[8:9]
	v_lshl_add_u64 v[16:17], s[10:11], 0, v[2:3]
	s_movk_i32 s41, 0x1ff
	s_movk_i32 s46, 0x7ff0
	s_xor_b64 s[30:31], s[30:31], -1
	s_xor_b64 s[34:35], vcc, -1
	s_waitcnt lgkmcnt(0)
	s_barrier
	s_branch .LBB6_9
.LBB6_8:                                ;   in Loop: Header=BB6_9 Depth=2
	s_or_b64 exec, exec, s[36:37]
	s_add_i32 s41, s41, -1
	s_add_i32 s46, s46, -16
	s_cmp_eq_u32 s41, -1
	v_lshl_add_u64 v[14:15], v[14:15], 0, -16
	s_cbranch_scc1 .LBB6_17
.LBB6_9:                                ;   Parent Loop BB6_5 Depth=1
                                        ; =>  This Inner Loop Header: Depth=2
	v_cmp_eq_u32_e32 vcc, s41, v0
	s_and_b64 s[38:39], vcc, s[30:31]
	s_and_saveexec_b64 s[36:37], s[38:39]
	s_cbranch_execz .LBB6_15
; %bb.10:                               ;   in Loop: Header=BB6_9 Depth=2
	global_load_dwordx4 v[6:9], v[16:17], off
	ds_read_b128 v[2:5], v1
                                        ; implicit-def: $vgpr10_vgpr11
	s_waitcnt vmcnt(0)
	v_cmp_ngt_f64_e64 s[38:39], |v[6:7]|, |v[8:9]|
	s_and_saveexec_b64 s[48:49], s[38:39]
	s_xor_b64 s[38:39], exec, s[48:49]
	s_cbranch_execz .LBB6_12
; %bb.11:                               ;   in Loop: Header=BB6_9 Depth=2
	v_div_scale_f64 v[10:11], s[48:49], -v[8:9], -v[8:9], v[6:7]
	v_rcp_f64_e32 v[12:13], v[10:11]
	v_div_scale_f64 v[22:23], vcc, v[6:7], -v[8:9], v[6:7]
	v_fma_f64 v[24:25], -v[10:11], v[12:13], 1.0
	v_fmac_f64_e32 v[12:13], v[12:13], v[24:25]
	v_fma_f64 v[24:25], -v[10:11], v[12:13], 1.0
	v_fmac_f64_e32 v[12:13], v[12:13], v[24:25]
	v_mul_f64 v[24:25], v[22:23], v[12:13]
	v_fma_f64 v[10:11], -v[10:11], v[24:25], v[22:23]
	v_div_fmas_f64 v[10:11], v[10:11], v[12:13], v[24:25]
	v_div_fixup_f64 v[12:13], v[10:11], -v[8:9], v[6:7]
	v_fma_f64 v[6:7], v[6:7], v[12:13], -v[8:9]
	v_div_scale_f64 v[8:9], s[48:49], v[6:7], v[6:7], 1.0
	v_rcp_f64_e32 v[10:11], v[8:9]
	s_nop 0
	v_fma_f64 v[22:23], -v[8:9], v[10:11], 1.0
	v_fmac_f64_e32 v[10:11], v[10:11], v[22:23]
	v_fma_f64 v[22:23], -v[8:9], v[10:11], 1.0
	v_fmac_f64_e32 v[10:11], v[10:11], v[22:23]
	v_div_scale_f64 v[22:23], vcc, 1.0, v[6:7], 1.0
	v_mul_f64 v[24:25], v[22:23], v[10:11]
	v_fma_f64 v[8:9], -v[8:9], v[24:25], v[22:23]
	s_nop 1
	v_div_fmas_f64 v[8:9], v[8:9], v[10:11], v[24:25]
	v_div_fixup_f64 v[6:7], v[8:9], v[6:7], 1.0
	s_waitcnt lgkmcnt(0)
	v_fma_f64 v[8:9], v[12:13], v[2:3], v[4:5]
	v_fma_f64 v[2:3], v[12:13], v[4:5], -v[2:3]
	v_mul_f64 v[10:11], v[8:9], v[6:7]
	v_mul_f64 v[12:13], v[6:7], v[2:3]
                                        ; implicit-def: $vgpr6_vgpr7
                                        ; implicit-def: $vgpr4_vgpr5
.LBB6_12:                               ;   in Loop: Header=BB6_9 Depth=2
	s_andn2_saveexec_b64 s[38:39], s[38:39]
	s_cbranch_execz .LBB6_14
; %bb.13:                               ;   in Loop: Header=BB6_9 Depth=2
	v_div_scale_f64 v[10:11], s[48:49], v[6:7], v[6:7], -v[8:9]
	v_rcp_f64_e32 v[12:13], v[10:11]
	v_div_scale_f64 v[22:23], vcc, -v[8:9], v[6:7], -v[8:9]
	v_fma_f64 v[24:25], -v[10:11], v[12:13], 1.0
	v_fmac_f64_e32 v[12:13], v[12:13], v[24:25]
	v_fma_f64 v[24:25], -v[10:11], v[12:13], 1.0
	v_fmac_f64_e32 v[12:13], v[12:13], v[24:25]
	v_mul_f64 v[24:25], v[22:23], v[12:13]
	v_fma_f64 v[10:11], -v[10:11], v[24:25], v[22:23]
	v_div_fmas_f64 v[10:11], v[10:11], v[12:13], v[24:25]
	v_div_fixup_f64 v[12:13], v[10:11], v[6:7], -v[8:9]
	v_fma_f64 v[6:7], -v[8:9], v[12:13], v[6:7]
	v_div_scale_f64 v[8:9], s[48:49], v[6:7], v[6:7], 1.0
	v_rcp_f64_e32 v[10:11], v[8:9]
	s_nop 0
	v_fma_f64 v[22:23], -v[8:9], v[10:11], 1.0
	v_fmac_f64_e32 v[10:11], v[10:11], v[22:23]
	v_fma_f64 v[22:23], -v[8:9], v[10:11], 1.0
	v_fmac_f64_e32 v[10:11], v[10:11], v[22:23]
	v_div_scale_f64 v[22:23], vcc, 1.0, v[6:7], 1.0
	v_mul_f64 v[24:25], v[22:23], v[10:11]
	v_fma_f64 v[8:9], -v[8:9], v[24:25], v[22:23]
	s_nop 1
	v_div_fmas_f64 v[8:9], v[8:9], v[10:11], v[24:25]
	v_div_fixup_f64 v[6:7], v[8:9], v[6:7], 1.0
	s_waitcnt lgkmcnt(0)
	v_fma_f64 v[8:9], v[12:13], v[4:5], v[2:3]
	v_fma_f64 v[2:3], -v[12:13], v[2:3], v[4:5]
	v_mul_f64 v[10:11], v[6:7], v[8:9]
	v_mul_f64 v[12:13], v[2:3], v[6:7]
.LBB6_14:                               ;   in Loop: Header=BB6_9 Depth=2
	s_or_b64 exec, exec, s[38:39]
	ds_write_b128 v1, v[10:13]
.LBB6_15:                               ;   in Loop: Header=BB6_9 Depth=2
	s_or_b64 exec, exec, s[36:37]
	v_cmp_gt_u32_e32 vcc, s41, v20
	s_and_b64 s[38:39], s[34:35], vcc
	s_waitcnt lgkmcnt(0)
	s_barrier
	s_and_saveexec_b64 s[36:37], s[38:39]
	s_cbranch_execz .LBB6_8
; %bb.16:                               ;   in Loop: Header=BB6_9 Depth=2
	global_load_dwordx4 v[2:5], v[14:15], off
	v_mov_b32_e32 v6, s46
	ds_read_b128 v[6:9], v6
	ds_read_b128 v[10:13], v1
	s_waitcnt vmcnt(0) lgkmcnt(1)
	v_mul_f64 v[22:23], v[4:5], v[8:9]
	v_mul_f64 v[4:5], v[4:5], v[6:7]
	v_fmac_f64_e32 v[22:23], v[2:3], v[6:7]
	v_fma_f64 v[4:5], v[2:3], v[8:9], -v[4:5]
	s_waitcnt lgkmcnt(0)
	v_add_f64 v[2:3], v[10:11], -v[22:23]
	v_add_f64 v[4:5], v[12:13], -v[4:5]
	ds_write_b128 v1, v[2:5]
	s_branch .LBB6_8
.LBB6_17:                               ;   in Loop: Header=BB6_5 Depth=1
	s_add_i32 s46, s40, 0xfffffe00
	s_cmp_lt_i32 s40, 1
	s_cselect_b64 s[30:31], -1, 0
	s_and_b64 vcc, exec, s[30:31]
	s_waitcnt lgkmcnt(0)
	s_barrier
	s_cbranch_vccnz .LBB6_41
; %bb.18:                               ;   in Loop: Header=BB6_5 Depth=1
	v_ashrrev_i32_e32 v2, 31, v32
	v_mad_i64_i32 v[20:21], s[34:35], v32, -16, s[2:3]
	v_mov_b32_e32 v3, s33
	v_sub_co_u32_e32 v22, vcc, s12, v32
	s_mov_b64 s[34:35], 0
	s_nop 0
	v_subb_co_u32_e32 v23, vcc, v3, v2, vcc
	v_mov_b32_e32 v34, v32
	v_mov_b32_e32 v35, v0
	s_mov_b32 s47, s46
                                        ; implicit-def: $sgpr36_sgpr37
	s_branch .LBB6_21
.LBB6_19:                               ;   in Loop: Header=BB6_21 Depth=2
	v_mad_u64_u32 v[2:3], s[40:41], s6, v36, 0
	v_mov_b32_e32 v4, v3
	v_mad_u64_u32 v[4:5], s[40:41], s7, v36, v[4:5]
	v_mov_b32_e32 v3, v4
	v_lshl_add_u64 v[6:7], v[2:3], 4, s[4:5]
	global_load_dwordx4 v[2:5], v[6:7], off
	s_add_i32 s48, s47, 0xfffffe00
	s_cmp_lt_i32 s47, 1
	s_cselect_b64 s[40:41], -1, 0
	s_andn2_b64 s[36:37], s[36:37], exec
	s_and_b64 s[40:41], s[40:41], exec
	v_add_u32_e32 v35, 0xfffffe00, v35
	v_lshl_add_u64 v[20:21], v[20:21], 0, s[24:25]
	v_lshl_add_u64 v[22:23], v[22:23], 0, s[26:27]
	v_add_u32_e32 v34, 0xfffffe00, v34
	s_or_b64 s[36:37], s[36:37], s[40:41]
	s_mov_b32 s47, s48
	s_waitcnt vmcnt(0)
	v_add_f64 v[2:3], v[2:3], -v[26:27]
	v_add_f64 v[4:5], v[4:5], -v[24:25]
	global_store_dwordx4 v[6:7], v[2:5], off
.LBB6_20:                               ;   in Loop: Header=BB6_21 Depth=2
	s_or_b64 exec, exec, s[38:39]
	s_and_b64 s[38:39], exec, s[36:37]
	s_or_b64 s[34:35], s[38:39], s[34:35]
	s_andn2_b64 exec, exec, s[34:35]
	s_cbranch_execz .LBB6_40
.LBB6_21:                               ;   Parent Loop BB6_5 Depth=1
                                        ; =>  This Loop Header: Depth=2
                                        ;       Child Loop BB6_24 Depth 3
	v_add_u32_e32 v36, s47, v0
	v_cmp_lt_i32_e32 vcc, -1, v36
	s_or_b64 s[36:37], s[36:37], exec
	s_and_saveexec_b64 s[38:39], vcc
	s_cbranch_execz .LBB6_20
; %bb.22:                               ;   in Loop: Header=BB6_21 Depth=2
	v_mad_u64_u32 v[2:3], s[40:41], v22, v34, 0
	v_mov_b32_e32 v4, v3
	v_mad_u64_u32 v[4:5], s[40:41], v23, v34, v[4:5]
	v_mov_b32_e32 v3, v4
	v_lshlrev_b64 v[2:3], 3, v[2:3]
	v_and_b32_e32 v2, -16, v2
	v_lshl_add_u64 v[28:29], v[20:21], 0, v[2:3]
	v_mov_b64_e32 v[24:25], 0
	s_movk_i32 s48, 0x6000
	s_movk_i32 s49, 0x200
	v_mov_b64_e32 v[26:27], 0
	s_branch .LBB6_24
.LBB6_23:                               ;   in Loop: Header=BB6_24 Depth=3
	s_or_b64 exec, exec, s[40:41]
	s_waitcnt lgkmcnt(0)
	v_add_f64 v[4:5], v[24:25], v[4:5]
	v_add_f64 v[2:3], v[26:27], v[2:3]
	;; [unrolled: 1-line block ×6, first 2 shown]
	s_add_i32 s48, s48, 64
	s_add_i32 s49, s49, -4
	v_add_f64 v[24:25], v[4:5], v[16:17]
	v_add_f64 v[26:27], v[2:3], v[14:15]
	s_cmp_eq_u32 s49, 0
	v_lshl_add_u64 v[28:29], v[28:29], 0, 64
	s_cbranch_scc1 .LBB6_19
.LBB6_24:                               ;   Parent Loop BB6_5 Depth=1
                                        ;     Parent Loop BB6_21 Depth=2
                                        ; =>    This Inner Loop Header: Depth=3
	v_add_u32_e32 v14, s49, v35
	v_cmp_ne_u32_e32 vcc, s42, v14
	s_or_b64 s[40:41], s[28:29], vcc
                                        ; implicit-def: $vgpr4_vgpr5
	s_and_saveexec_b64 s[50:51], s[40:41]
	s_xor_b64 s[40:41], exec, s[50:51]
	s_cbranch_execz .LBB6_26
; %bb.25:                               ;   in Loop: Header=BB6_24 Depth=3
	global_load_dwordx4 v[4:7], v[28:29], off offset:-32
	v_mov_b32_e32 v2, s48
	ds_read_b128 v[8:11], v2
	s_waitcnt vmcnt(0) lgkmcnt(0)
	v_mul_f64 v[2:3], v[6:7], v[10:11]
	v_mul_f64 v[6:7], v[6:7], v[8:9]
	v_fmac_f64_e32 v[2:3], v[4:5], v[8:9]
	v_fma_f64 v[4:5], v[4:5], v[10:11], -v[6:7]
.LBB6_26:                               ;   in Loop: Header=BB6_24 Depth=3
	s_andn2_saveexec_b64 s[40:41], s[40:41]
; %bb.27:                               ;   in Loop: Header=BB6_24 Depth=3
	v_mov_b32_e32 v2, s48
	ds_read_b128 v[2:5], v2
; %bb.28:                               ;   in Loop: Header=BB6_24 Depth=3
	s_or_b64 exec, exec, s[40:41]
	v_cmp_ne_u32_e32 vcc, s43, v14
	s_or_b64 s[40:41], s[28:29], vcc
                                        ; implicit-def: $vgpr8_vgpr9
	s_and_saveexec_b64 s[50:51], s[40:41]
	s_xor_b64 s[40:41], exec, s[50:51]
	s_cbranch_execz .LBB6_30
; %bb.29:                               ;   in Loop: Header=BB6_24 Depth=3
	global_load_dwordx4 v[8:11], v[28:29], off offset:-16
	v_mov_b32_e32 v6, s48
	ds_read_b128 v[38:41], v6 offset:16
	s_waitcnt vmcnt(0) lgkmcnt(0)
	v_mul_f64 v[6:7], v[10:11], v[40:41]
	v_mul_f64 v[10:11], v[10:11], v[38:39]
	v_fmac_f64_e32 v[6:7], v[8:9], v[38:39]
	v_fma_f64 v[8:9], v[8:9], v[40:41], -v[10:11]
.LBB6_30:                               ;   in Loop: Header=BB6_24 Depth=3
	s_andn2_saveexec_b64 s[40:41], s[40:41]
; %bb.31:                               ;   in Loop: Header=BB6_24 Depth=3
	v_mov_b32_e32 v6, s48
	ds_read_b128 v[6:9], v6 offset:16
; %bb.32:                               ;   in Loop: Header=BB6_24 Depth=3
	s_or_b64 exec, exec, s[40:41]
	v_cmp_ne_u32_e32 vcc, s44, v14
	s_or_b64 s[40:41], s[28:29], vcc
                                        ; implicit-def: $vgpr12_vgpr13
	s_and_saveexec_b64 s[50:51], s[40:41]
	s_xor_b64 s[40:41], exec, s[50:51]
	s_cbranch_execz .LBB6_34
; %bb.33:                               ;   in Loop: Header=BB6_24 Depth=3
	global_load_dwordx4 v[38:41], v[28:29], off
	v_mov_b32_e32 v10, s48
	ds_read_b128 v[42:45], v10 offset:32
	s_waitcnt vmcnt(0) lgkmcnt(0)
	v_mul_f64 v[10:11], v[40:41], v[44:45]
	v_mul_f64 v[12:13], v[40:41], v[42:43]
	v_fmac_f64_e32 v[10:11], v[38:39], v[42:43]
	v_fma_f64 v[12:13], v[38:39], v[44:45], -v[12:13]
.LBB6_34:                               ;   in Loop: Header=BB6_24 Depth=3
	s_andn2_saveexec_b64 s[40:41], s[40:41]
; %bb.35:                               ;   in Loop: Header=BB6_24 Depth=3
	v_mov_b32_e32 v10, s48
	ds_read_b128 v[10:13], v10 offset:32
; %bb.36:                               ;   in Loop: Header=BB6_24 Depth=3
	s_or_b64 exec, exec, s[40:41]
	v_cmp_ne_u32_e32 vcc, s45, v14
	s_or_b64 s[40:41], s[28:29], vcc
                                        ; implicit-def: $vgpr16_vgpr17
	s_and_saveexec_b64 s[50:51], s[40:41]
	s_xor_b64 s[40:41], exec, s[50:51]
	s_cbranch_execz .LBB6_38
; %bb.37:                               ;   in Loop: Header=BB6_24 Depth=3
	global_load_dwordx4 v[38:41], v[28:29], off offset:16
	v_mov_b32_e32 v14, s48
	ds_read_b128 v[42:45], v14 offset:48
	s_waitcnt vmcnt(0) lgkmcnt(0)
	v_mul_f64 v[14:15], v[40:41], v[44:45]
	v_mul_f64 v[16:17], v[40:41], v[42:43]
	v_fmac_f64_e32 v[14:15], v[38:39], v[42:43]
	v_fma_f64 v[16:17], v[38:39], v[44:45], -v[16:17]
.LBB6_38:                               ;   in Loop: Header=BB6_24 Depth=3
	s_andn2_saveexec_b64 s[40:41], s[40:41]
	s_cbranch_execz .LBB6_23
; %bb.39:                               ;   in Loop: Header=BB6_24 Depth=3
	v_mov_b32_e32 v14, s48
	ds_read_b128 v[14:17], v14 offset:48
	s_branch .LBB6_23
.LBB6_40:                               ;   in Loop: Header=BB6_5 Depth=1
	s_or_b64 exec, exec, s[34:35]
.LBB6_41:                               ;   in Loop: Header=BB6_5 Depth=1
	s_and_saveexec_b64 s[34:35], s[0:1]
	s_cbranch_execz .LBB6_4
; %bb.42:                               ;   in Loop: Header=BB6_5 Depth=1
	v_mad_u64_u32 v[6:7], s[0:1], s6, v33, 0
	ds_read2_b64 v[2:5], v1 offset1:1
	v_mov_b32_e32 v8, v7
	v_mad_u64_u32 v[8:9], s[0:1], s7, v33, v[8:9]
	v_mov_b32_e32 v7, v8
	v_lshl_add_u64 v[6:7], v[6:7], 4, s[4:5]
	s_waitcnt lgkmcnt(0)
	global_store_dwordx4 v[6:7], v[2:5], off
	s_branch .LBB6_4
.LBB6_43:
	s_mov_b64 s[0:1], 0
.LBB6_44:
	s_andn2_b64 vcc, exec, s[0:1]
	s_cbranch_vccnz .LBB6_91
; %bb.45:
	s_andn2_b64 vcc, exec, s[14:15]
	s_cbranch_vccnz .LBB6_91
; %bb.46:
	s_add_u32 s0, s18, s22
	s_addc_u32 s1, s19, s23
	v_mov_b32_e32 v1, 0x2000
	s_add_u32 s2, s16, s0
	v_mov_b32_e32 v15, 0
	v_lshl_or_b32 v26, v0, 4, v1
	s_addc_u32 s3, s17, s1
	v_mov_b32_e32 v1, v15
	s_add_u32 s24, s2, 8
	v_mad_u64_u32 v[16:17], s[0:1], v0, v0, v[0:1]
	s_addc_u32 s25, s3, 0
	v_lshlrev_b32_e32 v14, 10, v0
	s_mov_b64 s[0:1], 0x40200
	v_lshl_add_u64 v[18:19], v[14:15], 0, s[0:1]
	v_or_b32_e32 v14, 0x200, v0
	s_add_u32 s26, s2, 56
	s_mov_b32 s12, 0
	v_add_u32_e32 v1, 0x201, v0
	s_addc_u32 s27, s3, 0
	s_xor_b64 s[28:29], s[8:9], -1
	s_mov_b64 s[30:31], 0x200
	s_mov_b64 s[34:35], 0x80000
	v_mov_b64_e32 v[20:21], v[14:15]
	s_branch .LBB6_48
.LBB6_47:                               ;   in Loop: Header=BB6_48 Depth=1
	s_or_b64 exec, exec, s[36:37]
	s_add_u32 s24, s24, 0x2000
	s_addc_u32 s25, s25, 0
	v_lshl_add_u64 v[2:3], v[18:19], 0, s[34:35]
	s_add_u32 s26, s26, 0x2000
	v_lshl_add_u64 v[16:17], v[16:17], 0, v[18:19]
	v_lshl_add_u64 v[20:21], v[20:21], 0, s[30:31]
	v_add_u32_e32 v1, 0x200, v1
	s_addc_u32 s27, s27, 0
	s_and_b64 vcc, exec, s[2:3]
	v_mov_b64_e32 v[18:19], v[2:3]
	s_mov_b32 s12, s33
	s_barrier
	s_cbranch_vccnz .LBB6_91
.LBB6_48:                               ; =>This Loop Header: Depth=1
                                        ;     Child Loop BB6_52 Depth 2
                                        ;     Child Loop BB6_65 Depth 2
                                        ;       Child Loop BB6_68 Depth 3
	v_add_u32_e32 v27, s12, v0
	v_cmp_le_i32_e32 vcc, s13, v27
	v_cmp_gt_i32_e64 s[0:1], s13, v27
	s_and_saveexec_b64 s[2:3], s[0:1]
	s_cbranch_execz .LBB6_50
; %bb.49:                               ;   in Loop: Header=BB6_48 Depth=1
	v_mad_u64_u32 v[2:3], s[36:37], s6, v27, 0
	v_mov_b32_e32 v4, v3
	v_mad_u64_u32 v[4:5], s[36:37], s7, v27, v[4:5]
	v_mov_b32_e32 v3, v4
	v_lshl_add_u64 v[2:3], v[2:3], 4, s[4:5]
	global_load_dwordx4 v[2:5], v[2:3], off
	s_waitcnt vmcnt(0)
	ds_write2_b64 v26, v[2:3], v[4:5] offset1:1
.LBB6_50:                               ;   in Loop: Header=BB6_48 Depth=1
	s_or_b64 exec, exec, s[2:3]
	v_lshlrev_b64 v[2:3], 3, v[16:17]
	v_and_b32_e32 v2, -16, v2
	v_or_b32_e32 v14, s12, v0
	v_lshl_add_u64 v[22:23], s[24:25], 0, v[2:3]
	v_add_u32_e32 v2, 1, v14
	v_mad_u64_u32 v[2:3], s[36:37], v2, v14, 0
	v_lshlrev_b64 v[2:3], 3, v[2:3]
	v_and_b32_e32 v2, -16, v2
	v_lshl_add_u64 v[2:3], s[10:11], 0, v[2:3]
	v_cmp_le_i32_e64 s[2:3], s13, v14
	v_lshl_add_u64 v[24:25], v[14:15], 4, v[2:3]
	s_mov_b32 s33, 0
	s_movk_i32 s42, 0x2000
	s_xor_b64 s[36:37], vcc, -1
	s_waitcnt lgkmcnt(0)
	s_barrier
	s_branch .LBB6_52
.LBB6_51:                               ;   in Loop: Header=BB6_52 Depth=2
	s_or_b64 exec, exec, s[38:39]
	s_add_i32 s33, s33, 1
	s_add_i32 s42, s42, 16
	s_cmpk_eq_i32 s33, 0x200
	v_lshl_add_u64 v[22:23], v[22:23], 0, 16
	s_cbranch_scc1 .LBB6_61
.LBB6_52:                               ;   Parent Loop BB6_48 Depth=1
                                        ; =>  This Inner Loop Header: Depth=2
	v_cmp_ne_u32_e32 vcc, s33, v0
	s_or_b64 s[38:39], s[8:9], vcc
	s_nor_b64 s[40:41], s[38:39], s[2:3]
	s_and_saveexec_b64 s[38:39], s[40:41]
	s_cbranch_execz .LBB6_58
; %bb.53:                               ;   in Loop: Header=BB6_52 Depth=2
	global_load_dwordx4 v[6:9], v[24:25], off
	ds_read_b128 v[2:5], v26
                                        ; implicit-def: $vgpr10_vgpr11
	s_waitcnt vmcnt(0)
	v_cmp_ngt_f64_e64 s[40:41], |v[6:7]|, |v[8:9]|
	s_and_saveexec_b64 s[44:45], s[40:41]
	s_xor_b64 s[40:41], exec, s[44:45]
	s_cbranch_execz .LBB6_55
; %bb.54:                               ;   in Loop: Header=BB6_52 Depth=2
	v_div_scale_f64 v[10:11], s[44:45], -v[8:9], -v[8:9], v[6:7]
	v_rcp_f64_e32 v[12:13], v[10:11]
	v_div_scale_f64 v[28:29], vcc, v[6:7], -v[8:9], v[6:7]
	v_fma_f64 v[30:31], -v[10:11], v[12:13], 1.0
	v_fmac_f64_e32 v[12:13], v[12:13], v[30:31]
	v_fma_f64 v[30:31], -v[10:11], v[12:13], 1.0
	v_fmac_f64_e32 v[12:13], v[12:13], v[30:31]
	v_mul_f64 v[30:31], v[28:29], v[12:13]
	v_fma_f64 v[10:11], -v[10:11], v[30:31], v[28:29]
	v_div_fmas_f64 v[10:11], v[10:11], v[12:13], v[30:31]
	v_div_fixup_f64 v[12:13], v[10:11], -v[8:9], v[6:7]
	v_fma_f64 v[6:7], v[6:7], v[12:13], -v[8:9]
	v_div_scale_f64 v[8:9], s[44:45], v[6:7], v[6:7], 1.0
	v_rcp_f64_e32 v[10:11], v[8:9]
	s_nop 0
	v_fma_f64 v[28:29], -v[8:9], v[10:11], 1.0
	v_fmac_f64_e32 v[10:11], v[10:11], v[28:29]
	v_fma_f64 v[28:29], -v[8:9], v[10:11], 1.0
	v_fmac_f64_e32 v[10:11], v[10:11], v[28:29]
	v_div_scale_f64 v[28:29], vcc, 1.0, v[6:7], 1.0
	v_mul_f64 v[30:31], v[28:29], v[10:11]
	v_fma_f64 v[8:9], -v[8:9], v[30:31], v[28:29]
	s_nop 1
	v_div_fmas_f64 v[8:9], v[8:9], v[10:11], v[30:31]
	v_div_fixup_f64 v[6:7], v[8:9], v[6:7], 1.0
	s_waitcnt lgkmcnt(0)
	v_fma_f64 v[8:9], v[12:13], v[2:3], v[4:5]
	v_fma_f64 v[2:3], v[12:13], v[4:5], -v[2:3]
	v_mul_f64 v[10:11], v[8:9], v[6:7]
	v_mul_f64 v[12:13], v[6:7], v[2:3]
                                        ; implicit-def: $vgpr6_vgpr7
                                        ; implicit-def: $vgpr4_vgpr5
.LBB6_55:                               ;   in Loop: Header=BB6_52 Depth=2
	s_andn2_saveexec_b64 s[40:41], s[40:41]
	s_cbranch_execz .LBB6_57
; %bb.56:                               ;   in Loop: Header=BB6_52 Depth=2
	v_div_scale_f64 v[10:11], s[44:45], v[6:7], v[6:7], -v[8:9]
	v_rcp_f64_e32 v[12:13], v[10:11]
	v_div_scale_f64 v[28:29], vcc, -v[8:9], v[6:7], -v[8:9]
	v_fma_f64 v[30:31], -v[10:11], v[12:13], 1.0
	v_fmac_f64_e32 v[12:13], v[12:13], v[30:31]
	v_fma_f64 v[30:31], -v[10:11], v[12:13], 1.0
	v_fmac_f64_e32 v[12:13], v[12:13], v[30:31]
	v_mul_f64 v[30:31], v[28:29], v[12:13]
	v_fma_f64 v[10:11], -v[10:11], v[30:31], v[28:29]
	v_div_fmas_f64 v[10:11], v[10:11], v[12:13], v[30:31]
	v_div_fixup_f64 v[12:13], v[10:11], v[6:7], -v[8:9]
	v_fma_f64 v[6:7], -v[8:9], v[12:13], v[6:7]
	v_div_scale_f64 v[8:9], s[44:45], v[6:7], v[6:7], 1.0
	v_rcp_f64_e32 v[10:11], v[8:9]
	s_nop 0
	v_fma_f64 v[28:29], -v[8:9], v[10:11], 1.0
	v_fmac_f64_e32 v[10:11], v[10:11], v[28:29]
	v_fma_f64 v[28:29], -v[8:9], v[10:11], 1.0
	v_fmac_f64_e32 v[10:11], v[10:11], v[28:29]
	v_div_scale_f64 v[28:29], vcc, 1.0, v[6:7], 1.0
	v_mul_f64 v[30:31], v[28:29], v[10:11]
	v_fma_f64 v[8:9], -v[8:9], v[30:31], v[28:29]
	s_nop 1
	v_div_fmas_f64 v[8:9], v[8:9], v[10:11], v[30:31]
	v_div_fixup_f64 v[6:7], v[8:9], v[6:7], 1.0
	s_waitcnt lgkmcnt(0)
	v_fma_f64 v[8:9], v[12:13], v[4:5], v[2:3]
	v_fma_f64 v[2:3], -v[12:13], v[2:3], v[4:5]
	v_mul_f64 v[10:11], v[6:7], v[8:9]
	v_mul_f64 v[12:13], v[2:3], v[6:7]
.LBB6_57:                               ;   in Loop: Header=BB6_52 Depth=2
	s_or_b64 exec, exec, s[40:41]
	ds_write_b128 v26, v[10:13]
.LBB6_58:                               ;   in Loop: Header=BB6_52 Depth=2
	s_or_b64 exec, exec, s[38:39]
	v_cmp_lt_u32_e32 vcc, s33, v0
	s_waitcnt lgkmcnt(0)
	s_barrier
	s_and_saveexec_b64 s[38:39], vcc
	s_cbranch_execz .LBB6_51
; %bb.59:                               ;   in Loop: Header=BB6_52 Depth=2
	s_add_i32 s40, s12, s33
	s_cmp_lt_i32 s40, s13
	s_cselect_b64 s[40:41], -1, 0
	s_and_b64 s[40:41], s[36:37], s[40:41]
	s_and_b64 exec, exec, s[40:41]
	s_cbranch_execz .LBB6_51
; %bb.60:                               ;   in Loop: Header=BB6_52 Depth=2
	global_load_dwordx4 v[2:5], v[22:23], off offset:-8
	v_mov_b32_e32 v6, s42
	ds_read_b128 v[6:9], v6
	ds_read_b128 v[10:13], v26
	s_waitcnt vmcnt(0) lgkmcnt(1)
	v_mul_f64 v[28:29], v[4:5], v[8:9]
	v_mul_f64 v[4:5], v[4:5], v[6:7]
	v_fmac_f64_e32 v[28:29], v[2:3], v[6:7]
	v_fma_f64 v[4:5], v[2:3], v[8:9], -v[4:5]
	s_waitcnt lgkmcnt(0)
	v_add_f64 v[2:3], v[10:11], -v[28:29]
	v_add_f64 v[4:5], v[12:13], -v[4:5]
	ds_write_b128 v26, v[2:5]
	s_branch .LBB6_51
.LBB6_61:                               ;   in Loop: Header=BB6_48 Depth=1
	s_add_i32 s33, s12, 0x200
	s_cmp_ge_i32 s33, s13
	s_cselect_b64 s[2:3], -1, 0
	s_and_b64 vcc, exec, s[2:3]
	s_waitcnt lgkmcnt(0)
	s_barrier
	s_cbranch_vccnz .LBB6_89
; %bb.62:                               ;   in Loop: Header=BB6_48 Depth=1
	s_mov_b64 s[36:37], 0
	v_mov_b32_e32 v10, v1
	v_mov_b64_e32 v[2:3], v[20:21]
	v_mov_b32_e32 v11, v0
	s_mov_b32 s46, s33
                                        ; implicit-def: $sgpr38_sgpr39
	s_branch .LBB6_65
.LBB6_63:                               ;   in Loop: Header=BB6_65 Depth=2
	v_mad_u64_u32 v[8:9], s[42:43], s6, v12, 0
	v_mov_b32_e32 v14, v9
	v_mad_u64_u32 v[12:13], s[42:43], s7, v12, v[14:15]
	v_mov_b32_e32 v9, v12
	v_lshl_add_u64 v[12:13], v[8:9], 4, s[4:5]
	global_load_dwordx4 v[22:25], v[12:13], off
	s_addk_i32 s46, 0x200
	s_cmp_ge_i32 s46, s13
	s_cselect_b64 s[42:43], -1, 0
	s_andn2_b64 s[38:39], s[38:39], exec
	s_and_b64 s[42:43], s[42:43], exec
	v_lshl_add_u64 v[2:3], v[2:3], 0, s[30:31]
	v_add_u32_e32 v10, 0x200, v10
	s_or_b64 s[38:39], s[38:39], s[42:43]
	s_waitcnt vmcnt(0)
	v_add_f64 v[6:7], v[22:23], -v[6:7]
	v_add_f64 v[8:9], v[24:25], -v[4:5]
	global_store_dwordx4 v[12:13], v[6:9], off
.LBB6_64:                               ;   in Loop: Header=BB6_65 Depth=2
	s_or_b64 exec, exec, s[40:41]
	s_and_b64 s[40:41], exec, s[38:39]
	s_or_b64 s[36:37], s[40:41], s[36:37]
	s_andn2_b64 exec, exec, s[36:37]
	s_cbranch_execz .LBB6_88
.LBB6_65:                               ;   Parent Loop BB6_48 Depth=1
                                        ; =>  This Loop Header: Depth=2
                                        ;       Child Loop BB6_68 Depth 3
	v_add_u32_e32 v12, s46, v0
	v_cmp_gt_i32_e32 vcc, s13, v12
	s_or_b64 s[38:39], s[38:39], exec
	s_and_saveexec_b64 s[40:41], vcc
	s_cbranch_execz .LBB6_64
; %bb.66:                               ;   in Loop: Header=BB6_65 Depth=2
	v_mad_u64_u32 v[4:5], s[42:43], v2, v10, 0
	v_mov_b32_e32 v6, v5
	v_mad_u64_u32 v[6:7], s[42:43], v3, v10, v[6:7]
	v_mov_b32_e32 v5, v6
	v_lshlrev_b64 v[8:9], 3, v[4:5]
	v_and_b32_e32 v8, -16, v8
	v_add_u32_e32 v13, 0x1fd, v11
	v_add_u32_e32 v14, 0x1fe, v11
	;; [unrolled: 1-line block ×4, first 2 shown]
	v_mov_b64_e32 v[4:5], 0
	s_mov_b32 s47, 0
	s_movk_i32 s48, 0x2000
	s_mov_b64 s[42:43], s[26:27]
	v_mov_b64_e32 v[6:7], 0
	s_branch .LBB6_68
.LBB6_67:                               ;   in Loop: Header=BB6_68 Depth=3
	s_or_b64 exec, exec, s[44:45]
	s_add_i32 s47, s47, 4
	s_add_i32 s48, s48, 64
	s_add_u32 s42, s42, 64
	s_addc_u32 s43, s43, 0
	s_cmpk_eq_i32 s47, 0x200
	s_cbranch_scc1 .LBB6_63
.LBB6_68:                               ;   Parent Loop BB6_48 Depth=1
                                        ;     Parent Loop BB6_65 Depth=2
                                        ; =>    This Inner Loop Header: Depth=3
	v_cmp_ne_u32_e32 vcc, s47, v11
	s_add_i32 s49, s12, s47
	s_or_b64 s[44:45], s[28:29], vcc
	s_and_saveexec_b64 s[50:51], s[44:45]
	s_xor_b64 s[44:45], exec, s[50:51]
	s_cbranch_execz .LBB6_71
; %bb.69:                               ;   in Loop: Header=BB6_68 Depth=3
	s_cmp_ge_i32 s49, s13
	s_cbranch_scc1 .LBB6_71
; %bb.70:                               ;   in Loop: Header=BB6_68 Depth=3
	v_lshl_add_u64 v[24:25], s[42:43], 0, v[8:9]
	global_load_dwordx4 v[28:31], v[24:25], off offset:-56
	v_mov_b32_e32 v23, s48
	ds_read_b128 v[32:35], v23
	s_waitcnt vmcnt(0) lgkmcnt(0)
	v_mul_f64 v[24:25], v[30:31], v[34:35]
	v_mul_f64 v[30:31], v[30:31], v[32:33]
	v_fmac_f64_e32 v[24:25], v[28:29], v[32:33]
	v_fma_f64 v[28:29], v[28:29], v[34:35], -v[30:31]
	v_add_f64 v[6:7], v[6:7], v[24:25]
	v_add_f64 v[4:5], v[4:5], v[28:29]
.LBB6_71:                               ;   in Loop: Header=BB6_68 Depth=3
	s_andn2_saveexec_b64 s[44:45], s[44:45]
	s_cbranch_execz .LBB6_73
; %bb.72:                               ;   in Loop: Header=BB6_68 Depth=3
	v_mov_b32_e32 v23, s48
	ds_read_b128 v[28:31], v23
	s_waitcnt lgkmcnt(0)
	v_add_f64 v[6:7], v[6:7], v[28:29]
	v_add_f64 v[4:5], v[4:5], v[30:31]
.LBB6_73:                               ;   in Loop: Header=BB6_68 Depth=3
	s_or_b64 exec, exec, s[44:45]
	v_cmp_ne_u32_e32 vcc, s47, v22
	s_or_b64 s[44:45], s[28:29], vcc
	s_and_saveexec_b64 s[50:51], s[44:45]
	s_xor_b64 s[44:45], exec, s[50:51]
	s_cbranch_execz .LBB6_76
; %bb.74:                               ;   in Loop: Header=BB6_68 Depth=3
	s_add_i32 s50, s49, 1
	s_cmp_ge_i32 s50, s13
	s_cbranch_scc1 .LBB6_76
; %bb.75:                               ;   in Loop: Header=BB6_68 Depth=3
	v_lshl_add_u64 v[24:25], s[42:43], 0, v[8:9]
	global_load_dwordx4 v[28:31], v[24:25], off offset:-40
	v_mov_b32_e32 v23, s48
	ds_read_b128 v[32:35], v23 offset:16
	s_waitcnt vmcnt(0) lgkmcnt(0)
	v_mul_f64 v[24:25], v[30:31], v[34:35]
	v_mul_f64 v[30:31], v[30:31], v[32:33]
	v_fmac_f64_e32 v[24:25], v[28:29], v[32:33]
	v_fma_f64 v[28:29], v[28:29], v[34:35], -v[30:31]
	v_add_f64 v[6:7], v[6:7], v[24:25]
	v_add_f64 v[4:5], v[4:5], v[28:29]
.LBB6_76:                               ;   in Loop: Header=BB6_68 Depth=3
	s_andn2_saveexec_b64 s[44:45], s[44:45]
	s_cbranch_execz .LBB6_78
; %bb.77:                               ;   in Loop: Header=BB6_68 Depth=3
	v_mov_b32_e32 v23, s48
	ds_read_b128 v[28:31], v23 offset:16
	s_waitcnt lgkmcnt(0)
	v_add_f64 v[6:7], v[6:7], v[28:29]
	v_add_f64 v[4:5], v[4:5], v[30:31]
.LBB6_78:                               ;   in Loop: Header=BB6_68 Depth=3
	s_or_b64 exec, exec, s[44:45]
	v_cmp_ne_u32_e32 vcc, s47, v14
	s_or_b64 s[44:45], s[28:29], vcc
	s_and_saveexec_b64 s[50:51], s[44:45]
	s_xor_b64 s[44:45], exec, s[50:51]
	s_cbranch_execz .LBB6_81
; %bb.79:                               ;   in Loop: Header=BB6_68 Depth=3
	s_add_i32 s50, s49, 2
	s_cmp_ge_i32 s50, s13
	s_cbranch_scc1 .LBB6_81
; %bb.80:                               ;   in Loop: Header=BB6_68 Depth=3
	v_lshl_add_u64 v[24:25], s[42:43], 0, v[8:9]
	global_load_dwordx4 v[28:31], v[24:25], off offset:-24
	v_mov_b32_e32 v23, s48
	ds_read_b128 v[32:35], v23 offset:32
	s_waitcnt vmcnt(0) lgkmcnt(0)
	v_mul_f64 v[24:25], v[30:31], v[34:35]
	v_mul_f64 v[30:31], v[30:31], v[32:33]
	v_fmac_f64_e32 v[24:25], v[28:29], v[32:33]
	v_fma_f64 v[28:29], v[28:29], v[34:35], -v[30:31]
	v_add_f64 v[6:7], v[6:7], v[24:25]
	v_add_f64 v[4:5], v[4:5], v[28:29]
.LBB6_81:                               ;   in Loop: Header=BB6_68 Depth=3
	s_andn2_saveexec_b64 s[44:45], s[44:45]
	s_cbranch_execz .LBB6_83
; %bb.82:                               ;   in Loop: Header=BB6_68 Depth=3
	v_mov_b32_e32 v23, s48
	ds_read_b128 v[28:31], v23 offset:32
	s_waitcnt lgkmcnt(0)
	v_add_f64 v[6:7], v[6:7], v[28:29]
	v_add_f64 v[4:5], v[4:5], v[30:31]
.LBB6_83:                               ;   in Loop: Header=BB6_68 Depth=3
	s_or_b64 exec, exec, s[44:45]
	v_cmp_ne_u32_e32 vcc, s47, v13
	s_or_b64 s[44:45], s[28:29], vcc
	s_and_saveexec_b64 s[50:51], s[44:45]
	s_xor_b64 s[44:45], exec, s[50:51]
	s_cbranch_execz .LBB6_86
; %bb.84:                               ;   in Loop: Header=BB6_68 Depth=3
	s_add_i32 s49, s49, 3
	s_cmp_ge_i32 s49, s13
	s_cbranch_scc1 .LBB6_86
; %bb.85:                               ;   in Loop: Header=BB6_68 Depth=3
	v_lshl_add_u64 v[24:25], s[42:43], 0, v[8:9]
	global_load_dwordx4 v[28:31], v[24:25], off offset:-8
	v_mov_b32_e32 v23, s48
	ds_read_b128 v[32:35], v23 offset:48
	s_waitcnt vmcnt(0) lgkmcnt(0)
	v_mul_f64 v[24:25], v[30:31], v[34:35]
	v_mul_f64 v[30:31], v[30:31], v[32:33]
	v_fmac_f64_e32 v[24:25], v[28:29], v[32:33]
	v_fma_f64 v[28:29], v[28:29], v[34:35], -v[30:31]
	v_add_f64 v[6:7], v[6:7], v[24:25]
	v_add_f64 v[4:5], v[4:5], v[28:29]
.LBB6_86:                               ;   in Loop: Header=BB6_68 Depth=3
	s_andn2_saveexec_b64 s[44:45], s[44:45]
	s_cbranch_execz .LBB6_67
; %bb.87:                               ;   in Loop: Header=BB6_68 Depth=3
	v_mov_b32_e32 v23, s48
	ds_read_b128 v[28:31], v23 offset:48
	s_waitcnt lgkmcnt(0)
	v_add_f64 v[6:7], v[6:7], v[28:29]
	v_add_f64 v[4:5], v[4:5], v[30:31]
	s_branch .LBB6_67
.LBB6_88:                               ;   in Loop: Header=BB6_48 Depth=1
	s_or_b64 exec, exec, s[36:37]
.LBB6_89:                               ;   in Loop: Header=BB6_48 Depth=1
	s_and_saveexec_b64 s[36:37], s[0:1]
	s_cbranch_execz .LBB6_47
; %bb.90:                               ;   in Loop: Header=BB6_48 Depth=1
	v_mad_u64_u32 v[6:7], s[0:1], s6, v27, 0
	ds_read2_b64 v[2:5], v26 offset1:1
	v_mov_b32_e32 v8, v7
	v_mad_u64_u32 v[8:9], s[0:1], s7, v27, v[8:9]
	v_mov_b32_e32 v7, v8
	v_lshl_add_u64 v[6:7], v[6:7], 4, s[4:5]
	s_waitcnt lgkmcnt(0)
	global_store_dwordx4 v[6:7], v[2:5], off
	s_branch .LBB6_47
.LBB6_91:
	s_mov_b64 s[0:1], 0
.LBB6_92:
	s_andn2_b64 vcc, exec, s[0:1]
	s_cbranch_vccnz .LBB6_166
; %bb.93:
	s_mov_b64 s[0:1], -1
	s_and_b64 vcc, exec, s[20:21]
	s_cbranch_vccz .LBB6_132
; %bb.94:
	s_andn2_b64 vcc, exec, s[14:15]
	s_cbranch_vccnz .LBB6_131
; %bb.95:
	s_lshl_b32 s20, s13, 1
	s_or_b32 s12, s20, 1
	s_ashr_i32 s21, s20, 31
	s_add_u32 s0, s18, s22
	s_addc_u32 s1, s19, s23
	s_add_u32 s0, s16, s0
	s_addc_u32 s1, s17, s1
	s_lshl_b64 s[2:3], s[20:21], 9
	s_add_u32 s44, s2, 0xfffc0200
	s_addc_u32 s45, s3, -1
	s_add_u32 s16, s0, -16
	s_addc_u32 s17, s1, -1
	s_add_u32 s28, s2, 0xfffbfe00
	s_addc_u32 s29, s3, -1
	s_lshl_b64 s[2:3], s[20:21], 1
	s_add_u32 s18, s2, -6
	s_addc_u32 s19, s3, -1
	v_mov_b32_e32 v1, 0
	s_add_u32 s22, s0, 8
	v_lshlrev_b32_e32 v14, 4, v0
	v_mov_b32_e32 v15, v1
	s_addc_u32 s23, s1, 0
	v_lshl_add_u64 v[2:3], s[0:1], 0, v[14:15]
	s_add_u32 s24, s2, -2
	s_movk_i32 s36, 0xffe0
	v_lshl_add_u64 v[16:17], v[2:3], 0, 8
	v_or_b32_e32 v18, 0x200, v0
	s_addc_u32 s25, s3, -1
	s_mov_b64 s[26:27], 0
	s_mov_b64 s[30:31], 0x200
	s_mov_b64 s[34:35], 0x1ff
	s_mov_b32 s37, -1
	s_mov_b64 s[38:39], 0x2000
	s_mov_b64 s[40:41], 0
	;; [unrolled: 1-line block ×4, first 2 shown]
	s_branch .LBB6_97
.LBB6_96:                               ;   in Loop: Header=BB6_97 Depth=1
	s_or_b64 exec, exec, s[46:47]
	s_add_u32 s0, s44, 0xfff80000
	s_addc_u32 s1, s45, -1
	s_add_u32 s26, s26, s44
	s_addc_u32 s27, s27, s45
	s_add_u32 s42, s42, 0xfffffc00
	s_addc_u32 s43, s43, -1
	s_add_u32 s40, s40, 0xfffffe00
	s_addc_u32 s41, s41, -1
	;; [unrolled: 2-line block ×3, first 2 shown]
	s_add_u32 s20, s20, s28
	s_addc_u32 s21, s21, s29
	s_add_u32 s18, s18, 0xfffff800
	s_addc_u32 s19, s19, -1
	s_add_u32 s24, s24, 0xfffff800
	v_add_u32_e32 v18, 0x200, v18
	s_addc_u32 s25, s25, -1
	s_and_b64 vcc, exec, s[48:49]
	s_mov_b64 s[28:29], s[44:45]
	s_mov_b64 s[44:45], s[0:1]
	;; [unrolled: 1-line block ×3, first 2 shown]
	s_barrier
	s_cbranch_vccnz .LBB6_131
.LBB6_97:                               ; =>This Loop Header: Depth=1
                                        ;     Child Loop BB6_101 Depth 2
                                        ;     Child Loop BB6_114 Depth 2
                                        ;       Child Loop BB6_116 Depth 3
	v_add_u32_e32 v15, s46, v0
	v_cmp_le_i32_e32 vcc, s13, v15
	v_cmp_gt_i32_e64 s[0:1], s13, v15
	s_and_saveexec_b64 s[2:3], s[0:1]
	s_cbranch_execz .LBB6_99
; %bb.98:                               ;   in Loop: Header=BB6_97 Depth=1
	v_mad_u64_u32 v[2:3], s[48:49], s6, v15, 0
	v_mov_b32_e32 v4, v3
	v_mad_u64_u32 v[4:5], s[48:49], s7, v15, v[4:5]
	v_mov_b32_e32 v3, v4
	v_lshl_add_u64 v[2:3], v[2:3], 4, s[4:5]
	global_load_dwordx4 v[2:5], v[2:3], off
	s_waitcnt vmcnt(0)
	ds_write2_b64 v14, v[2:3], v[4:5] offset1:1
.LBB6_99:                               ;   in Loop: Header=BB6_97 Depth=1
	s_or_b64 exec, exec, s[2:3]
	v_or_b32_e32 v5, s46, v0
	v_sub_u32_e32 v2, s12, v5
	v_ashrrev_i32_e32 v6, 31, v2
	v_mad_u64_u32 v[2:3], s[48:49], v2, v5, 0
	v_mov_b32_e32 v4, v3
	v_cmp_le_i32_e64 s[2:3], s13, v5
	v_mad_u64_u32 v[4:5], s[48:49], v6, v5, v[4:5]
	v_mov_b32_e32 v3, v4
	v_lshlrev_b64 v[2:3], 3, v[2:3]
	v_and_b32_e32 v2, -16, v2
	v_lshl_add_u64 v[20:21], s[10:11], 0, v[2:3]
	s_mov_b64 s[48:49], 0
	s_mov_b32 s33, 0
	s_xor_b64 s[50:51], vcc, -1
	s_mov_b64 s[52:53], s[26:27]
	s_mov_b64 s[54:55], s[42:43]
	v_mov_b64_e32 v[22:23], v[16:17]
	s_waitcnt lgkmcnt(0)
	s_barrier
	s_branch .LBB6_101
.LBB6_100:                              ;   in Loop: Header=BB6_101 Depth=2
	s_or_b64 exec, exec, s[56:57]
	s_add_u32 s48, s48, 1
	s_addc_u32 s49, s49, 0
	s_add_u32 s56, s54, -2
	s_addc_u32 s57, s55, -1
	s_add_u32 s52, s52, s54
	s_addc_u32 s53, s53, s55
	s_add_i32 s33, s33, 16
	v_lshl_add_u64 v[22:23], v[22:23], 0, -16
	s_cmpk_eq_i32 s48, 0x200
	s_mov_b64 s[54:55], s[56:57]
	s_cbranch_scc1 .LBB6_110
.LBB6_101:                              ;   Parent Loop BB6_97 Depth=1
                                        ; =>  This Inner Loop Header: Depth=2
	v_cmp_ne_u32_e32 vcc, s48, v0
	s_or_b64 s[56:57], s[8:9], vcc
	s_nor_b64 s[58:59], s[56:57], s[2:3]
	s_and_saveexec_b64 s[56:57], s[58:59]
	s_cbranch_execz .LBB6_107
; %bb.102:                              ;   in Loop: Header=BB6_101 Depth=2
	global_load_dwordx4 v[2:5], v[20:21], off
	ds_read_b128 v[6:9], v14
                                        ; implicit-def: $vgpr10_vgpr11
	s_waitcnt vmcnt(0)
	v_cmp_ngt_f64_e64 s[58:59], |v[2:3]|, |v[4:5]|
	s_and_saveexec_b64 s[60:61], s[58:59]
	s_xor_b64 s[58:59], exec, s[60:61]
	s_cbranch_execz .LBB6_104
; %bb.103:                              ;   in Loop: Header=BB6_101 Depth=2
	v_div_scale_f64 v[10:11], s[60:61], v[4:5], v[4:5], v[2:3]
	v_rcp_f64_e32 v[12:13], v[10:11]
	v_div_scale_f64 v[24:25], vcc, v[2:3], v[4:5], v[2:3]
	v_fma_f64 v[26:27], -v[10:11], v[12:13], 1.0
	v_fmac_f64_e32 v[12:13], v[12:13], v[26:27]
	v_fma_f64 v[26:27], -v[10:11], v[12:13], 1.0
	v_fmac_f64_e32 v[12:13], v[12:13], v[26:27]
	v_mul_f64 v[26:27], v[24:25], v[12:13]
	v_fma_f64 v[10:11], -v[10:11], v[26:27], v[24:25]
	v_div_fmas_f64 v[10:11], v[10:11], v[12:13], v[26:27]
	v_div_fixup_f64 v[12:13], v[10:11], v[4:5], v[2:3]
	v_fmac_f64_e32 v[4:5], v[2:3], v[12:13]
	v_div_scale_f64 v[2:3], s[60:61], v[4:5], v[4:5], 1.0
	v_rcp_f64_e32 v[10:11], v[2:3]
	s_nop 0
	v_fma_f64 v[24:25], -v[2:3], v[10:11], 1.0
	v_fmac_f64_e32 v[10:11], v[10:11], v[24:25]
	v_fma_f64 v[24:25], -v[2:3], v[10:11], 1.0
	v_fmac_f64_e32 v[10:11], v[10:11], v[24:25]
	v_div_scale_f64 v[24:25], vcc, 1.0, v[4:5], 1.0
	v_mul_f64 v[26:27], v[24:25], v[10:11]
	v_fma_f64 v[2:3], -v[2:3], v[26:27], v[24:25]
	s_nop 1
	v_div_fmas_f64 v[2:3], v[2:3], v[10:11], v[26:27]
	v_div_fixup_f64 v[2:3], v[2:3], v[4:5], 1.0
	s_waitcnt lgkmcnt(0)
	v_fma_f64 v[4:5], v[12:13], v[6:7], v[8:9]
	v_mul_f64 v[10:11], v[4:5], v[2:3]
	v_fma_f64 v[4:5], v[12:13], v[8:9], -v[6:7]
	v_mul_f64 v[12:13], v[2:3], v[4:5]
                                        ; implicit-def: $vgpr2_vgpr3
                                        ; implicit-def: $vgpr8_vgpr9
.LBB6_104:                              ;   in Loop: Header=BB6_101 Depth=2
	s_andn2_saveexec_b64 s[58:59], s[58:59]
	s_cbranch_execz .LBB6_106
; %bb.105:                              ;   in Loop: Header=BB6_101 Depth=2
	v_div_scale_f64 v[10:11], s[60:61], v[2:3], v[2:3], v[4:5]
	v_rcp_f64_e32 v[12:13], v[10:11]
	v_div_scale_f64 v[24:25], vcc, v[4:5], v[2:3], v[4:5]
	v_fma_f64 v[26:27], -v[10:11], v[12:13], 1.0
	v_fmac_f64_e32 v[12:13], v[12:13], v[26:27]
	v_fma_f64 v[26:27], -v[10:11], v[12:13], 1.0
	v_fmac_f64_e32 v[12:13], v[12:13], v[26:27]
	v_mul_f64 v[26:27], v[24:25], v[12:13]
	v_fma_f64 v[10:11], -v[10:11], v[26:27], v[24:25]
	v_div_fmas_f64 v[10:11], v[10:11], v[12:13], v[26:27]
	v_div_fixup_f64 v[12:13], v[10:11], v[2:3], v[4:5]
	v_fmac_f64_e32 v[2:3], v[4:5], v[12:13]
	v_div_scale_f64 v[4:5], s[60:61], v[2:3], v[2:3], 1.0
	v_rcp_f64_e32 v[10:11], v[4:5]
	s_nop 0
	v_fma_f64 v[24:25], -v[4:5], v[10:11], 1.0
	v_fmac_f64_e32 v[10:11], v[10:11], v[24:25]
	v_fma_f64 v[24:25], -v[4:5], v[10:11], 1.0
	v_fmac_f64_e32 v[10:11], v[10:11], v[24:25]
	v_div_scale_f64 v[24:25], vcc, 1.0, v[2:3], 1.0
	v_mul_f64 v[26:27], v[24:25], v[10:11]
	v_fma_f64 v[4:5], -v[4:5], v[26:27], v[24:25]
	s_nop 1
	v_div_fmas_f64 v[4:5], v[4:5], v[10:11], v[26:27]
	v_div_fixup_f64 v[2:3], v[4:5], v[2:3], 1.0
	s_waitcnt lgkmcnt(0)
	v_fma_f64 v[4:5], v[12:13], v[8:9], v[6:7]
	v_mul_f64 v[10:11], v[2:3], v[4:5]
	v_fma_f64 v[4:5], -v[12:13], v[6:7], v[8:9]
	v_mul_f64 v[12:13], v[4:5], v[2:3]
.LBB6_106:                              ;   in Loop: Header=BB6_101 Depth=2
	s_or_b64 exec, exec, s[58:59]
	ds_write_b128 v14, v[10:13]
.LBB6_107:                              ;   in Loop: Header=BB6_101 Depth=2
	s_or_b64 exec, exec, s[56:57]
	v_cmp_lt_u32_e32 vcc, s48, v0
	s_waitcnt lgkmcnt(0)
	s_barrier
	s_and_saveexec_b64 s[56:57], vcc
	s_cbranch_execz .LBB6_100
; %bb.108:                              ;   in Loop: Header=BB6_101 Depth=2
	s_add_i32 s58, s46, s48
	s_cmp_lt_i32 s58, s13
	s_cselect_b64 s[58:59], -1, 0
	s_and_b64 s[58:59], s[50:51], s[58:59]
	s_and_b64 exec, exec, s[58:59]
	s_cbranch_execz .LBB6_100
; %bb.109:                              ;   in Loop: Header=BB6_101 Depth=2
	s_lshl_b64 s[58:59], s[52:53], 3
	s_and_b32 s58, s58, -16
	v_lshl_add_u64 v[2:3], v[22:23], 0, s[58:59]
	global_load_dwordx4 v[2:5], v[2:3], off offset:-8
	v_mov_b32_e32 v6, s33
	ds_read_b128 v[6:9], v6
	ds_read_b128 v[10:13], v14
	s_waitcnt vmcnt(0) lgkmcnt(1)
	v_mul_f64 v[24:25], v[4:5], v[8:9]
	v_mul_f64 v[8:9], v[2:3], v[8:9]
	v_fma_f64 v[2:3], v[2:3], v[6:7], -v[24:25]
	v_fmac_f64_e32 v[8:9], v[4:5], v[6:7]
	s_waitcnt lgkmcnt(0)
	v_add_f64 v[2:3], v[10:11], -v[2:3]
	v_add_f64 v[4:5], v[12:13], -v[8:9]
	ds_write_b128 v14, v[2:5]
	s_branch .LBB6_100
.LBB6_110:                              ;   in Loop: Header=BB6_97 Depth=1
	s_add_u32 s2, s46, 0x200
	s_addc_u32 s3, s47, 0
	s_cmp_ge_i32 s2, s13
	s_cselect_b64 s[48:49], -1, 0
	s_and_b64 vcc, exec, s[48:49]
	s_waitcnt lgkmcnt(0)
	s_barrier
	s_cbranch_vccnz .LBB6_129
; %bb.111:                              ;   in Loop: Header=BB6_97 Depth=1
	v_ashrrev_i32_e32 v19, 31, v18
	v_lshl_add_u64 v[2:3], s[40:41], 0, v[18:19]
	v_lshlrev_b64 v[4:5], 4, v[2:3]
	s_mov_b32 s33, s2
	v_lshl_add_u64 v[2:3], s[16:17], 0, v[4:5]
	v_lshl_add_u64 v[4:5], s[22:23], 0, v[4:5]
	s_mov_b64 s[50:51], 0
	v_mov_b64_e32 v[6:7], v[0:1]
                                        ; implicit-def: $sgpr52_sgpr53
	s_branch .LBB6_114
.LBB6_112:                              ;   in Loop: Header=BB6_114 Depth=2
	v_mad_u64_u32 v[12:13], s[56:57], s6, v19, 0
	v_mov_b32_e32 v20, v13
	v_mad_u64_u32 v[20:21], s[56:57], s7, v19, v[20:21]
	v_mov_b32_e32 v13, v20
	v_lshl_add_u64 v[24:25], v[12:13], 4, s[4:5]
	global_load_dwordx4 v[20:23], v[24:25], off
	s_addk_i32 s33, 0x200
	s_cmp_ge_i32 s33, s13
	s_cselect_b64 s[56:57], -1, 0
	s_andn2_b64 s[52:53], s[52:53], exec
	s_and_b64 s[56:57], s[56:57], exec
	v_lshl_add_u64 v[2:3], v[2:3], 0, s[38:39]
	v_lshl_add_u64 v[4:5], v[4:5], 0, s[38:39]
	s_or_b64 s[52:53], s[52:53], s[56:57]
	s_waitcnt vmcnt(0)
	v_add_f64 v[10:11], v[20:21], -v[10:11]
	v_add_f64 v[12:13], v[22:23], -v[8:9]
	global_store_dwordx4 v[24:25], v[10:13], off
.LBB6_113:                              ;   in Loop: Header=BB6_114 Depth=2
	s_or_b64 exec, exec, s[54:55]
	s_and_b64 s[54:55], exec, s[52:53]
	s_or_b64 s[50:51], s[54:55], s[50:51]
	s_andn2_b64 exec, exec, s[50:51]
	s_cbranch_execz .LBB6_128
.LBB6_114:                              ;   Parent Loop BB6_97 Depth=1
                                        ; =>  This Loop Header: Depth=2
                                        ;       Child Loop BB6_116 Depth 3
	v_add_u32_e32 v19, s33, v0
	v_cmp_gt_i32_e32 vcc, s13, v19
	s_or_b64 s[52:53], s[52:53], exec
	s_and_saveexec_b64 s[54:55], vcc
	s_cbranch_execz .LBB6_113
; %bb.115:                              ;   in Loop: Header=BB6_114 Depth=2
	v_lshl_add_u64 v[12:13], v[6:7], 0, s[34:35]
	v_lshl_add_u64 v[6:7], v[6:7], 0, s[30:31]
	v_mov_b64_e32 v[8:9], 0
	s_mov_b64 s[56:57], 0
	s_mov_b32 s47, 0
	s_mov_b64 s[58:59], s[26:27]
	s_mov_b64 s[62:63], s[24:25]
	v_mov_b64_e32 v[20:21], v[4:5]
	s_mov_b64 s[60:61], s[20:21]
	s_mov_b64 s[64:65], s[18:19]
	v_mov_b64_e32 v[22:23], v[2:3]
	v_mov_b64_e32 v[10:11], 0
.LBB6_116:                              ;   Parent Loop BB6_97 Depth=1
                                        ;     Parent Loop BB6_114 Depth=2
                                        ; =>    This Inner Loop Header: Depth=3
	v_cmp_ne_u32_e32 vcc, s56, v6
	s_xor_b64 s[66:67], s[8:9], -1
	s_add_u32 s70, s46, s56
	s_or_b64 s[68:69], s[66:67], vcc
	s_and_saveexec_b64 s[72:73], s[68:69]
	s_xor_b64 s[68:69], exec, s[72:73]
	s_cbranch_execz .LBB6_119
; %bb.117:                              ;   in Loop: Header=BB6_116 Depth=3
	s_cmp_ge_i32 s70, s13
	s_cbranch_scc1 .LBB6_119
; %bb.118:                              ;   in Loop: Header=BB6_116 Depth=3
	s_lshl_b64 s[72:73], s[58:59], 3
	s_and_b32 s72, s72, -16
	v_lshl_add_u64 v[24:25], v[20:21], 0, s[72:73]
	global_load_dwordx4 v[24:27], v[24:25], off offset:-8
	v_mov_b32_e32 v13, s47
	ds_read_b128 v[28:31], v13
	s_waitcnt vmcnt(0) lgkmcnt(0)
	v_mul_f64 v[32:33], v[26:27], v[30:31]
	v_mul_f64 v[30:31], v[24:25], v[30:31]
	v_fma_f64 v[24:25], v[24:25], v[28:29], -v[32:33]
	v_fmac_f64_e32 v[30:31], v[26:27], v[28:29]
	v_add_f64 v[10:11], v[10:11], v[24:25]
	v_add_f64 v[8:9], v[8:9], v[30:31]
.LBB6_119:                              ;   in Loop: Header=BB6_116 Depth=3
	s_andn2_saveexec_b64 s[68:69], s[68:69]
	s_cbranch_execz .LBB6_121
; %bb.120:                              ;   in Loop: Header=BB6_116 Depth=3
	v_mov_b32_e32 v13, s47
	ds_read_b128 v[24:27], v13
	s_waitcnt lgkmcnt(0)
	v_add_f64 v[10:11], v[10:11], v[24:25]
	v_add_f64 v[8:9], v[8:9], v[26:27]
.LBB6_121:                              ;   in Loop: Header=BB6_116 Depth=3
	s_or_b64 exec, exec, s[68:69]
	v_cmp_ne_u32_e32 vcc, s56, v12
	s_or_b64 s[66:67], s[66:67], vcc
	s_and_saveexec_b64 s[68:69], s[66:67]
	s_xor_b64 s[66:67], exec, s[68:69]
	s_cbranch_execz .LBB6_124
; %bb.122:                              ;   in Loop: Header=BB6_116 Depth=3
	s_add_i32 s70, s70, 1
	s_cmp_ge_i32 s70, s13
	s_cbranch_scc1 .LBB6_124
; %bb.123:                              ;   in Loop: Header=BB6_116 Depth=3
	s_lshl_b64 s[68:69], s[60:61], 3
	s_and_b32 s68, s68, -16
	v_lshl_add_u64 v[24:25], v[22:23], 0, s[68:69]
	global_load_dwordx4 v[24:27], v[24:25], off
	v_mov_b32_e32 v13, s47
	ds_read_b128 v[28:31], v13 offset:16
	s_waitcnt vmcnt(0) lgkmcnt(0)
	v_mul_f64 v[32:33], v[26:27], v[30:31]
	v_mul_f64 v[30:31], v[24:25], v[30:31]
	v_fma_f64 v[24:25], v[24:25], v[28:29], -v[32:33]
	v_fmac_f64_e32 v[30:31], v[26:27], v[28:29]
	v_add_f64 v[10:11], v[10:11], v[24:25]
	v_add_f64 v[8:9], v[8:9], v[30:31]
.LBB6_124:                              ;   in Loop: Header=BB6_116 Depth=3
	s_andn2_saveexec_b64 s[66:67], s[66:67]
	s_cbranch_execz .LBB6_126
; %bb.125:                              ;   in Loop: Header=BB6_116 Depth=3
	v_mov_b32_e32 v13, s47
	ds_read_b128 v[24:27], v13 offset:16
	s_waitcnt lgkmcnt(0)
	v_add_f64 v[10:11], v[10:11], v[24:25]
	v_add_f64 v[8:9], v[8:9], v[26:27]
.LBB6_126:                              ;   in Loop: Header=BB6_116 Depth=3
	s_or_b64 exec, exec, s[66:67]
	s_add_u32 s56, s56, 2
	s_addc_u32 s57, s57, 0
	s_add_i32 s47, s47, 32
	s_add_u32 s66, s64, -8
	s_addc_u32 s67, s65, -1
	s_add_u32 s60, s60, s64
	s_addc_u32 s61, s61, s65
	s_add_u32 s64, s62, -8
	s_addc_u32 s65, s63, -1
	s_add_u32 s58, s58, s62
	s_addc_u32 s59, s59, s63
	v_lshl_add_u64 v[22:23], v[22:23], 0, s[36:37]
	s_cmpk_eq_i32 s56, 0x200
	v_lshl_add_u64 v[20:21], v[20:21], 0, s[36:37]
	s_cbranch_scc1 .LBB6_112
; %bb.127:                              ;   in Loop: Header=BB6_116 Depth=3
	s_mov_b64 s[62:63], s[64:65]
	s_mov_b64 s[64:65], s[66:67]
	s_branch .LBB6_116
.LBB6_128:                              ;   in Loop: Header=BB6_97 Depth=1
	s_or_b64 exec, exec, s[50:51]
.LBB6_129:                              ;   in Loop: Header=BB6_97 Depth=1
	s_and_saveexec_b64 s[46:47], s[0:1]
	s_cbranch_execz .LBB6_96
; %bb.130:                              ;   in Loop: Header=BB6_97 Depth=1
	v_mad_u64_u32 v[6:7], s[0:1], s6, v15, 0
	ds_read2_b64 v[2:5], v14 offset1:1
	v_mov_b32_e32 v8, v7
	v_mad_u64_u32 v[8:9], s[0:1], s7, v15, v[8:9]
	v_mov_b32_e32 v7, v8
	v_lshl_add_u64 v[6:7], v[6:7], 4, s[4:5]
	s_waitcnt lgkmcnt(0)
	global_store_dwordx4 v[6:7], v[2:5], off
	s_branch .LBB6_96
.LBB6_131:
	s_mov_b64 s[0:1], 0
.LBB6_132:
	s_andn2_b64 vcc, exec, s[0:1]
	s_cbranch_vccnz .LBB6_166
; %bb.133:
	s_andn2_b64 vcc, exec, s[14:15]
	s_cbranch_vccnz .LBB6_166
; %bb.134:
	v_mov_b32_e32 v1, 0x4000
	v_mov_b32_e32 v15, 0
	s_movk_i32 s18, 0xfe00
	s_add_i32 s37, s13, 0xfffffe00
	v_lshl_or_b32 v28, v0, 4, v1
	s_mov_b32 s33, 0
	s_mov_b32 s36, s13
	v_mov_b32_e32 v1, v15
	s_mov_b64 s[12:13], 0xfffffdff
	s_mov_b64 s[14:15], 0xfffffe00
	s_xor_b64 s[16:17], s[8:9], -1
	s_mov_b32 s19, -1
	s_branch .LBB6_136
.LBB6_135:                              ;   in Loop: Header=BB6_136 Depth=1
	s_or_b64 exec, exec, s[20:21]
	s_add_u32 s36, s36, 0xfffffe00
	s_addc_u32 s33, s33, -1
	s_and_b64 vcc, exec, s[2:3]
	s_mov_b32 s37, s38
	s_barrier
	s_cbranch_vccnz .LBB6_166
.LBB6_136:                              ; =>This Loop Header: Depth=1
                                        ;     Child Loop BB6_140 Depth 2
                                        ;     Child Loop BB6_152 Depth 2
                                        ;       Child Loop BB6_155 Depth 3
	v_add_u32_e32 v16, s37, v0
	v_cmp_gt_i32_e32 vcc, 0, v16
	v_cmp_lt_i32_e64 s[0:1], -1, v16
	v_mov_b32_e32 v17, v15
	s_and_saveexec_b64 s[2:3], s[0:1]
	s_cbranch_execz .LBB6_138
; %bb.137:                              ;   in Loop: Header=BB6_136 Depth=1
	v_mad_u64_u32 v[2:3], s[20:21], s6, v16, 0
	v_mov_b32_e32 v4, v3
	v_mad_u64_u32 v[4:5], s[20:21], s7, v16, v[4:5]
	v_mov_b32_e32 v3, v4
	v_lshl_add_u64 v[2:3], v[2:3], 4, s[4:5]
	global_load_dwordx4 v[2:5], v[2:3], off
	s_waitcnt vmcnt(0)
	ds_write2_b64 v28, v[2:3], v[4:5] offset1:1
.LBB6_138:                              ;   in Loop: Header=BB6_136 Depth=1
	s_or_b64 exec, exec, s[2:3]
	v_add_u32_e32 v4, 1, v16
	v_ashrrev_i32_e32 v3, 31, v16
	v_mov_b32_e32 v2, v16
	v_mad_u64_u32 v[4:5], s[2:3], v16, v4, 0
	v_lshl_add_u64 v[18:19], v[2:3], 4, s[10:11]
	v_lshlrev_b64 v[2:3], 3, v[4:5]
	v_lshl_add_u64 v[6:7], v[16:17], 4, s[10:11]
	v_and_b32_e32 v2, -16, v2
	s_or_b64 s[2:3], s[8:9], vcc
	v_lshl_add_u64 v[20:21], v[6:7], 0, v[2:3]
	s_movk_i32 s24, 0x1ff
	s_movk_i32 s25, 0x5ff0
	s_xor_b64 s[20:21], s[2:3], -1
	s_waitcnt lgkmcnt(0)
	s_barrier
	s_branch .LBB6_140
.LBB6_139:                              ;   in Loop: Header=BB6_140 Depth=2
	s_or_b64 exec, exec, s[2:3]
	s_add_i32 s24, s24, -1
	s_add_i32 s25, s25, -16
	s_cmp_eq_u32 s24, -1
	s_cbranch_scc1 .LBB6_148
.LBB6_140:                              ;   Parent Loop BB6_136 Depth=1
                                        ; =>  This Inner Loop Header: Depth=2
	v_cmp_eq_u32_e32 vcc, s24, v0
	s_and_b64 s[22:23], vcc, s[20:21]
	s_and_saveexec_b64 s[2:3], s[22:23]
	s_cbranch_execz .LBB6_146
; %bb.141:                              ;   in Loop: Header=BB6_140 Depth=2
	global_load_dwordx4 v[2:5], v[20:21], off
	ds_read_b128 v[6:9], v28
                                        ; implicit-def: $vgpr10_vgpr11
	s_waitcnt vmcnt(0)
	v_cmp_ngt_f64_e64 s[22:23], |v[2:3]|, |v[4:5]|
	s_and_saveexec_b64 s[26:27], s[22:23]
	s_xor_b64 s[22:23], exec, s[26:27]
	s_cbranch_execz .LBB6_143
; %bb.142:                              ;   in Loop: Header=BB6_140 Depth=2
	v_div_scale_f64 v[10:11], s[26:27], v[4:5], v[4:5], v[2:3]
	v_rcp_f64_e32 v[12:13], v[10:11]
	v_div_scale_f64 v[22:23], vcc, v[2:3], v[4:5], v[2:3]
	v_fma_f64 v[24:25], -v[10:11], v[12:13], 1.0
	v_fmac_f64_e32 v[12:13], v[12:13], v[24:25]
	v_fma_f64 v[24:25], -v[10:11], v[12:13], 1.0
	v_fmac_f64_e32 v[12:13], v[12:13], v[24:25]
	v_mul_f64 v[24:25], v[22:23], v[12:13]
	v_fma_f64 v[10:11], -v[10:11], v[24:25], v[22:23]
	v_div_fmas_f64 v[10:11], v[10:11], v[12:13], v[24:25]
	v_div_fixup_f64 v[12:13], v[10:11], v[4:5], v[2:3]
	v_fmac_f64_e32 v[4:5], v[2:3], v[12:13]
	v_div_scale_f64 v[2:3], s[26:27], v[4:5], v[4:5], 1.0
	v_rcp_f64_e32 v[10:11], v[2:3]
	s_nop 0
	v_fma_f64 v[22:23], -v[2:3], v[10:11], 1.0
	v_fmac_f64_e32 v[10:11], v[10:11], v[22:23]
	v_fma_f64 v[22:23], -v[2:3], v[10:11], 1.0
	v_fmac_f64_e32 v[10:11], v[10:11], v[22:23]
	v_div_scale_f64 v[22:23], vcc, 1.0, v[4:5], 1.0
	v_mul_f64 v[24:25], v[22:23], v[10:11]
	v_fma_f64 v[2:3], -v[2:3], v[24:25], v[22:23]
	s_nop 1
	v_div_fmas_f64 v[2:3], v[2:3], v[10:11], v[24:25]
	v_div_fixup_f64 v[2:3], v[2:3], v[4:5], 1.0
	s_waitcnt lgkmcnt(0)
	v_fma_f64 v[4:5], v[12:13], v[6:7], v[8:9]
	v_mul_f64 v[10:11], v[4:5], v[2:3]
	v_fma_f64 v[4:5], v[12:13], v[8:9], -v[6:7]
	v_mul_f64 v[12:13], v[2:3], v[4:5]
                                        ; implicit-def: $vgpr2_vgpr3
                                        ; implicit-def: $vgpr8_vgpr9
.LBB6_143:                              ;   in Loop: Header=BB6_140 Depth=2
	s_andn2_saveexec_b64 s[22:23], s[22:23]
	s_cbranch_execz .LBB6_145
; %bb.144:                              ;   in Loop: Header=BB6_140 Depth=2
	v_div_scale_f64 v[10:11], s[26:27], v[2:3], v[2:3], v[4:5]
	v_rcp_f64_e32 v[12:13], v[10:11]
	v_div_scale_f64 v[22:23], vcc, v[4:5], v[2:3], v[4:5]
	v_fma_f64 v[24:25], -v[10:11], v[12:13], 1.0
	v_fmac_f64_e32 v[12:13], v[12:13], v[24:25]
	v_fma_f64 v[24:25], -v[10:11], v[12:13], 1.0
	v_fmac_f64_e32 v[12:13], v[12:13], v[24:25]
	v_mul_f64 v[24:25], v[22:23], v[12:13]
	v_fma_f64 v[10:11], -v[10:11], v[24:25], v[22:23]
	v_div_fmas_f64 v[10:11], v[10:11], v[12:13], v[24:25]
	v_div_fixup_f64 v[12:13], v[10:11], v[2:3], v[4:5]
	v_fmac_f64_e32 v[2:3], v[4:5], v[12:13]
	v_div_scale_f64 v[4:5], s[26:27], v[2:3], v[2:3], 1.0
	v_rcp_f64_e32 v[10:11], v[4:5]
	s_nop 0
	v_fma_f64 v[22:23], -v[4:5], v[10:11], 1.0
	v_fmac_f64_e32 v[10:11], v[10:11], v[22:23]
	v_fma_f64 v[22:23], -v[4:5], v[10:11], 1.0
	v_fmac_f64_e32 v[10:11], v[10:11], v[22:23]
	v_div_scale_f64 v[22:23], vcc, 1.0, v[2:3], 1.0
	v_mul_f64 v[24:25], v[22:23], v[10:11]
	v_fma_f64 v[4:5], -v[4:5], v[24:25], v[22:23]
	s_nop 1
	v_div_fmas_f64 v[4:5], v[4:5], v[10:11], v[24:25]
	v_div_fixup_f64 v[2:3], v[4:5], v[2:3], 1.0
	s_waitcnt lgkmcnt(0)
	v_fma_f64 v[4:5], v[12:13], v[8:9], v[6:7]
	v_mul_f64 v[10:11], v[2:3], v[4:5]
	v_fma_f64 v[4:5], -v[12:13], v[6:7], v[8:9]
	v_mul_f64 v[12:13], v[4:5], v[2:3]
.LBB6_145:                              ;   in Loop: Header=BB6_140 Depth=2
	s_or_b64 exec, exec, s[22:23]
	ds_write_b128 v28, v[10:13]
.LBB6_146:                              ;   in Loop: Header=BB6_140 Depth=2
	s_or_b64 exec, exec, s[2:3]
	s_add_i32 s23, s36, s24
	s_add_i32 s22, s23, 0xfffffe00
	v_or_b32_e32 v2, s22, v16
	v_cmp_gt_u32_e32 vcc, s24, v0
	v_cmp_lt_i32_e64 s[2:3], -1, v2
	s_and_b64 s[26:27], vcc, s[2:3]
	s_waitcnt lgkmcnt(0)
	s_barrier
	s_and_saveexec_b64 s[2:3], s[26:27]
	s_cbranch_execz .LBB6_139
; %bb.147:                              ;   in Loop: Header=BB6_140 Depth=2
	s_add_i32 s26, s23, 0xfffffe01
	s_mul_hi_u32 s23, s26, s22
	s_mul_i32 s22, s26, s22
	s_lshl_b64 s[22:23], s[22:23], 3
	s_and_b32 s22, s22, -16
	v_lshl_add_u64 v[2:3], v[18:19], 0, s[22:23]
	global_load_dwordx4 v[2:5], v[2:3], off
	v_mov_b32_e32 v6, s25
	ds_read_b128 v[6:9], v6
	ds_read_b128 v[10:13], v28
	s_waitcnt vmcnt(0) lgkmcnt(1)
	v_mul_f64 v[22:23], v[4:5], v[8:9]
	v_mul_f64 v[8:9], v[2:3], v[8:9]
	v_fma_f64 v[2:3], v[2:3], v[6:7], -v[22:23]
	v_fmac_f64_e32 v[8:9], v[4:5], v[6:7]
	s_waitcnt lgkmcnt(0)
	v_add_f64 v[2:3], v[10:11], -v[2:3]
	v_add_f64 v[4:5], v[12:13], -v[8:9]
	ds_write_b128 v28, v[2:5]
	s_branch .LBB6_139
.LBB6_148:                              ;   in Loop: Header=BB6_136 Depth=1
	s_add_i32 s38, s37, 0xfffffe00
	s_cmp_lt_i32 s37, 1
	s_cselect_b64 s[2:3], -1, 0
	s_and_b64 vcc, exec, s[2:3]
	s_waitcnt lgkmcnt(0)
	s_barrier
	s_cbranch_vccnz .LBB6_164
; %bb.149:                              ;   in Loop: Header=BB6_136 Depth=1
	s_mov_b64 s[20:21], 0
	v_mov_b64_e32 v[10:11], v[0:1]
	s_mov_b32 s39, s38
                                        ; implicit-def: $sgpr22_sgpr23
	s_branch .LBB6_152
.LBB6_150:                              ;   in Loop: Header=BB6_152 Depth=2
	v_mad_u64_u32 v[2:3], s[26:27], s6, v14, 0
	v_mov_b32_e32 v4, v3
	v_mad_u64_u32 v[4:5], s[26:27], s7, v14, v[4:5]
	v_mov_b32_e32 v3, v4
	v_lshl_add_u64 v[6:7], v[2:3], 4, s[4:5]
	global_load_dwordx4 v[2:5], v[6:7], off
	s_add_i32 s28, s39, 0xfffffe00
	s_cmp_lt_i32 s39, 1
	s_cselect_b64 s[26:27], -1, 0
	s_andn2_b64 s[22:23], s[22:23], exec
	s_and_b64 s[26:27], s[26:27], exec
	v_lshl_add_u64 v[10:11], v[10:11], 0, s[18:19]
	s_or_b64 s[22:23], s[22:23], s[26:27]
	s_mov_b32 s39, s28
	s_waitcnt vmcnt(0)
	v_add_f64 v[2:3], v[2:3], -v[18:19]
	v_add_f64 v[4:5], v[4:5], -v[12:13]
	global_store_dwordx4 v[6:7], v[2:5], off
.LBB6_151:                              ;   in Loop: Header=BB6_152 Depth=2
	s_or_b64 exec, exec, s[24:25]
	s_and_b64 s[24:25], exec, s[22:23]
	s_or_b64 s[20:21], s[24:25], s[20:21]
	s_andn2_b64 exec, exec, s[20:21]
	s_cbranch_execz .LBB6_163
.LBB6_152:                              ;   Parent Loop BB6_136 Depth=1
                                        ; =>  This Loop Header: Depth=2
                                        ;       Child Loop BB6_155 Depth 3
	v_add_u32_e32 v14, s39, v0
	v_cmp_lt_i32_e32 vcc, -1, v14
	s_or_b64 s[22:23], s[22:23], exec
	s_and_saveexec_b64 s[24:25], vcc
	s_cbranch_execz .LBB6_151
; %bb.153:                              ;   in Loop: Header=BB6_152 Depth=2
	v_lshl_add_u64 v[20:21], v[14:15], 4, s[10:11]
	v_lshl_add_u64 v[22:23], v[10:11], 0, s[12:13]
	;; [unrolled: 1-line block ×3, first 2 shown]
	v_mov_b64_e32 v[12:13], 0
	s_movk_i32 s40, 0x4000
	s_mov_b64 s[26:27], 0
	v_mov_b64_e32 v[18:19], 0
	s_branch .LBB6_155
.LBB6_154:                              ;   in Loop: Header=BB6_155 Depth=3
	s_or_b64 exec, exec, s[28:29]
	s_add_i32 s40, s40, 32
	s_add_u32 s26, s26, 2
	s_waitcnt lgkmcnt(0)
	v_add_f64 v[4:5], v[12:13], v[4:5]
	v_add_f64 v[2:3], v[18:19], v[2:3]
	s_addc_u32 s27, s27, 0
	v_add_f64 v[12:13], v[4:5], v[8:9]
	s_cmpk_eq_i32 s26, 0x200
	v_add_f64 v[18:19], v[2:3], v[6:7]
	s_cbranch_scc1 .LBB6_150
.LBB6_155:                              ;   Parent Loop BB6_136 Depth=1
                                        ;     Parent Loop BB6_152 Depth=2
                                        ; =>    This Inner Loop Header: Depth=3
	v_cmp_ne_u32_e32 vcc, s26, v24
	s_or_b64 s[34:35], s[16:17], vcc
                                        ; implicit-def: $vgpr4_vgpr5
                                        ; implicit-def: $sgpr28_sgpr29
                                        ; implicit-def: $sgpr30_sgpr31
	s_and_saveexec_b64 s[42:43], s[34:35]
	s_xor_b64 s[34:35], exec, s[42:43]
	s_cbranch_execz .LBB6_157
; %bb.156:                              ;   in Loop: Header=BB6_155 Depth=3
	s_add_u32 s28, s36, s26
	s_addc_u32 s29, s33, s27
	s_add_u32 s30, s28, 0xfffffe01
	s_addc_u32 s31, s29, 0
	;; [unrolled: 2-line block ×3, first 2 shown]
	s_mul_i32 s42, s30, s42
	s_mul_hi_u32 s43, s30, s41
	s_add_i32 s43, s43, s42
	s_mul_i32 s42, s30, s41
	s_lshl_b64 s[42:43], s[42:43], 3
	s_and_b32 s42, s42, -16
	v_lshl_add_u64 v[2:3], v[20:21], 0, s[42:43]
	global_load_dwordx4 v[6:9], v[2:3], off
	v_mov_b32_e32 v2, s40
	ds_read_b128 v[30:33], v2
	s_waitcnt vmcnt(0) lgkmcnt(0)
	v_mul_f64 v[2:3], v[8:9], v[32:33]
	v_mul_f64 v[4:5], v[6:7], v[32:33]
	v_fma_f64 v[2:3], v[6:7], v[30:31], -v[2:3]
	v_fmac_f64_e32 v[4:5], v[8:9], v[30:31]
.LBB6_157:                              ;   in Loop: Header=BB6_155 Depth=3
	s_or_saveexec_b64 s[34:35], s[34:35]
	v_mov_b64_e32 v[6:7], s[30:31]
	v_mov_b64_e32 v[26:27], s[28:29]
	s_xor_b64 exec, exec, s[34:35]
	s_cbranch_execz .LBB6_159
; %bb.158:                              ;   in Loop: Header=BB6_155 Depth=3
	v_mov_b32_e32 v2, s40
	ds_read_b128 v[2:5], v2
	s_add_u32 s28, s36, s26
	s_addc_u32 s29, s33, s27
	s_add_u32 s30, s28, 0xfffffe01
	s_addc_u32 s31, s29, 0
	v_mov_b64_e32 v[6:7], s[30:31]
	v_mov_b64_e32 v[26:27], s[28:29]
.LBB6_159:                              ;   in Loop: Header=BB6_155 Depth=3
	s_or_b64 exec, exec, s[34:35]
	v_cmp_ne_u32_e32 vcc, s26, v22
	s_or_b64 s[28:29], s[16:17], vcc
                                        ; implicit-def: $vgpr8_vgpr9
	s_and_saveexec_b64 s[30:31], s[28:29]
	s_xor_b64 s[28:29], exec, s[30:31]
	s_cbranch_execz .LBB6_161
; %bb.160:                              ;   in Loop: Header=BB6_155 Depth=3
	v_add_u32_e32 v7, 0xfffffe02, v26
	v_mad_u64_u32 v[6:7], s[30:31], v7, v6, 0
	v_lshlrev_b64 v[6:7], 3, v[6:7]
	v_and_b32_e32 v6, -16, v6
	v_lshl_add_u64 v[6:7], v[20:21], 0, v[6:7]
	global_load_dwordx4 v[30:33], v[6:7], off
	v_mov_b32_e32 v6, s40
	ds_read_b128 v[34:37], v6 offset:16
	s_waitcnt vmcnt(0) lgkmcnt(0)
	v_mul_f64 v[6:7], v[32:33], v[36:37]
	v_mul_f64 v[8:9], v[30:31], v[36:37]
	v_fma_f64 v[6:7], v[30:31], v[34:35], -v[6:7]
	v_fmac_f64_e32 v[8:9], v[32:33], v[34:35]
.LBB6_161:                              ;   in Loop: Header=BB6_155 Depth=3
	s_andn2_saveexec_b64 s[28:29], s[28:29]
	s_cbranch_execz .LBB6_154
; %bb.162:                              ;   in Loop: Header=BB6_155 Depth=3
	v_mov_b32_e32 v6, s40
	ds_read_b128 v[6:9], v6 offset:16
	s_branch .LBB6_154
.LBB6_163:                              ;   in Loop: Header=BB6_136 Depth=1
	s_or_b64 exec, exec, s[20:21]
.LBB6_164:                              ;   in Loop: Header=BB6_136 Depth=1
	s_and_saveexec_b64 s[20:21], s[0:1]
	s_cbranch_execz .LBB6_135
; %bb.165:                              ;   in Loop: Header=BB6_136 Depth=1
	v_mad_u64_u32 v[6:7], s[0:1], s6, v16, 0
	ds_read2_b64 v[2:5], v28 offset1:1
	v_mov_b32_e32 v8, v7
	v_mad_u64_u32 v[8:9], s[0:1], s7, v16, v[8:9]
	v_mov_b32_e32 v7, v8
	v_lshl_add_u64 v[6:7], v[6:7], 4, s[4:5]
	s_waitcnt lgkmcnt(0)
	global_store_dwordx4 v[6:7], v[2:5], off
	s_branch .LBB6_135
.LBB6_166:
	s_endpgm
	.section	.rodata,"a",@progbits
	.p2align	6, 0x0
	.amdhsa_kernel _ZL19rocblas_tpsv_kernelILb1ELi512EPK19rocblas_complex_numIdEPS1_Ev18rocblas_operation_bbiT1_llT2_lll
		.amdhsa_group_segment_fixed_size 32768
		.amdhsa_private_segment_fixed_size 0
		.amdhsa_kernarg_size 72
		.amdhsa_user_sgpr_count 2
		.amdhsa_user_sgpr_dispatch_ptr 0
		.amdhsa_user_sgpr_queue_ptr 0
		.amdhsa_user_sgpr_kernarg_segment_ptr 1
		.amdhsa_user_sgpr_dispatch_id 0
		.amdhsa_user_sgpr_kernarg_preload_length 0
		.amdhsa_user_sgpr_kernarg_preload_offset 0
		.amdhsa_user_sgpr_private_segment_size 0
		.amdhsa_uses_dynamic_stack 0
		.amdhsa_enable_private_segment 0
		.amdhsa_system_sgpr_workgroup_id_x 1
		.amdhsa_system_sgpr_workgroup_id_y 0
		.amdhsa_system_sgpr_workgroup_id_z 0
		.amdhsa_system_sgpr_workgroup_info 0
		.amdhsa_system_vgpr_workitem_id 0
		.amdhsa_next_free_vgpr 46
		.amdhsa_next_free_sgpr 74
		.amdhsa_accum_offset 48
		.amdhsa_reserve_vcc 1
		.amdhsa_float_round_mode_32 0
		.amdhsa_float_round_mode_16_64 0
		.amdhsa_float_denorm_mode_32 3
		.amdhsa_float_denorm_mode_16_64 3
		.amdhsa_dx10_clamp 1
		.amdhsa_ieee_mode 1
		.amdhsa_fp16_overflow 0
		.amdhsa_tg_split 0
		.amdhsa_exception_fp_ieee_invalid_op 0
		.amdhsa_exception_fp_denorm_src 0
		.amdhsa_exception_fp_ieee_div_zero 0
		.amdhsa_exception_fp_ieee_overflow 0
		.amdhsa_exception_fp_ieee_underflow 0
		.amdhsa_exception_fp_ieee_inexact 0
		.amdhsa_exception_int_div_zero 0
	.end_amdhsa_kernel
	.section	.text._ZL19rocblas_tpsv_kernelILb1ELi512EPK19rocblas_complex_numIdEPS1_Ev18rocblas_operation_bbiT1_llT2_lll,"axG",@progbits,_ZL19rocblas_tpsv_kernelILb1ELi512EPK19rocblas_complex_numIdEPS1_Ev18rocblas_operation_bbiT1_llT2_lll,comdat
.Lfunc_end6:
	.size	_ZL19rocblas_tpsv_kernelILb1ELi512EPK19rocblas_complex_numIdEPS1_Ev18rocblas_operation_bbiT1_llT2_lll, .Lfunc_end6-_ZL19rocblas_tpsv_kernelILb1ELi512EPK19rocblas_complex_numIdEPS1_Ev18rocblas_operation_bbiT1_llT2_lll
                                        ; -- End function
	.set _ZL19rocblas_tpsv_kernelILb1ELi512EPK19rocblas_complex_numIdEPS1_Ev18rocblas_operation_bbiT1_llT2_lll.num_vgpr, 46
	.set _ZL19rocblas_tpsv_kernelILb1ELi512EPK19rocblas_complex_numIdEPS1_Ev18rocblas_operation_bbiT1_llT2_lll.num_agpr, 0
	.set _ZL19rocblas_tpsv_kernelILb1ELi512EPK19rocblas_complex_numIdEPS1_Ev18rocblas_operation_bbiT1_llT2_lll.numbered_sgpr, 74
	.set _ZL19rocblas_tpsv_kernelILb1ELi512EPK19rocblas_complex_numIdEPS1_Ev18rocblas_operation_bbiT1_llT2_lll.num_named_barrier, 0
	.set _ZL19rocblas_tpsv_kernelILb1ELi512EPK19rocblas_complex_numIdEPS1_Ev18rocblas_operation_bbiT1_llT2_lll.private_seg_size, 0
	.set _ZL19rocblas_tpsv_kernelILb1ELi512EPK19rocblas_complex_numIdEPS1_Ev18rocblas_operation_bbiT1_llT2_lll.uses_vcc, 1
	.set _ZL19rocblas_tpsv_kernelILb1ELi512EPK19rocblas_complex_numIdEPS1_Ev18rocblas_operation_bbiT1_llT2_lll.uses_flat_scratch, 0
	.set _ZL19rocblas_tpsv_kernelILb1ELi512EPK19rocblas_complex_numIdEPS1_Ev18rocblas_operation_bbiT1_llT2_lll.has_dyn_sized_stack, 0
	.set _ZL19rocblas_tpsv_kernelILb1ELi512EPK19rocblas_complex_numIdEPS1_Ev18rocblas_operation_bbiT1_llT2_lll.has_recursion, 0
	.set _ZL19rocblas_tpsv_kernelILb1ELi512EPK19rocblas_complex_numIdEPS1_Ev18rocblas_operation_bbiT1_llT2_lll.has_indirect_call, 0
	.section	.AMDGPU.csdata,"",@progbits
; Kernel info:
; codeLenInByte = 7852
; TotalNumSgprs: 80
; NumVgprs: 46
; NumAgprs: 0
; TotalNumVgprs: 46
; ScratchSize: 0
; MemoryBound: 0
; FloatMode: 240
; IeeeMode: 1
; LDSByteSize: 32768 bytes/workgroup (compile time only)
; SGPRBlocks: 9
; VGPRBlocks: 5
; NumSGPRsForWavesPerEU: 80
; NumVGPRsForWavesPerEU: 46
; AccumOffset: 48
; Occupancy: 8
; WaveLimiterHint : 0
; COMPUTE_PGM_RSRC2:SCRATCH_EN: 0
; COMPUTE_PGM_RSRC2:USER_SGPR: 2
; COMPUTE_PGM_RSRC2:TRAP_HANDLER: 0
; COMPUTE_PGM_RSRC2:TGID_X_EN: 1
; COMPUTE_PGM_RSRC2:TGID_Y_EN: 0
; COMPUTE_PGM_RSRC2:TGID_Z_EN: 0
; COMPUTE_PGM_RSRC2:TIDIG_COMP_CNT: 0
; COMPUTE_PGM_RSRC3_GFX90A:ACCUM_OFFSET: 11
; COMPUTE_PGM_RSRC3_GFX90A:TG_SPLIT: 0
	.section	.text._ZL19rocblas_tpsv_kernelILb0ELi512EPK19rocblas_complex_numIdEPS1_Ev18rocblas_operation_bbiT1_llT2_lll,"axG",@progbits,_ZL19rocblas_tpsv_kernelILb0ELi512EPK19rocblas_complex_numIdEPS1_Ev18rocblas_operation_bbiT1_llT2_lll,comdat
	.globl	_ZL19rocblas_tpsv_kernelILb0ELi512EPK19rocblas_complex_numIdEPS1_Ev18rocblas_operation_bbiT1_llT2_lll ; -- Begin function _ZL19rocblas_tpsv_kernelILb0ELi512EPK19rocblas_complex_numIdEPS1_Ev18rocblas_operation_bbiT1_llT2_lll
	.p2align	8
	.type	_ZL19rocblas_tpsv_kernelILb0ELi512EPK19rocblas_complex_numIdEPS1_Ev18rocblas_operation_bbiT1_llT2_lll,@function
_ZL19rocblas_tpsv_kernelILb0ELi512EPK19rocblas_complex_numIdEPS1_Ev18rocblas_operation_bbiT1_llT2_lll: ; @_ZL19rocblas_tpsv_kernelILb0ELi512EPK19rocblas_complex_numIdEPS1_Ev18rocblas_operation_bbiT1_llT2_lll
; %bb.0:
	s_load_dwordx2 s[28:29], s[0:1], 0x0
	s_load_dwordx2 s[12:13], s[0:1], 0x4
	;; [unrolled: 1-line block ×3, first 2 shown]
	s_load_dwordx4 s[24:27], s[0:1], 0x18
	s_load_dwordx2 s[14:15], s[0:1], 0x28
	s_waitcnt lgkmcnt(0)
	s_bitcmp1_b32 s29, 0
	s_cselect_b64 s[4:5], -1, 0
	s_xor_b64 s[20:21], s[4:5], -1
	s_bitcmp1_b32 s12, 8
	s_load_dwordx4 s[4:7], s[0:1], 0x30
	s_load_dwordx2 s[30:31], s[0:1], 0x40
	s_mul_i32 s0, s27, s2
	s_mul_hi_u32 s1, s26, s2
	s_cselect_b64 s[8:9], -1, 0
	s_add_i32 s1, s1, s0
	s_mul_i32 s0, s26, s2
	s_lshl_b64 s[18:19], s[0:1], 4
	s_add_u32 s0, s16, s18
	s_addc_u32 s1, s17, s19
	s_lshl_b64 s[22:23], s[24:25], 4
	s_add_u32 s10, s0, s22
	s_addc_u32 s11, s1, s23
	s_waitcnt lgkmcnt(0)
	s_mul_i32 s0, s31, s2
	s_mul_hi_u32 s1, s30, s2
	s_add_i32 s1, s1, s0
	s_mul_i32 s0, s30, s2
	s_lshl_b64 s[0:1], s[0:1], 4
	s_add_u32 s2, s14, s0
	s_addc_u32 s3, s15, s1
	s_lshl_b64 s[0:1], s[4:5], 4
	s_add_u32 s4, s2, s0
	s_addc_u32 s5, s3, s1
	s_cmp_gt_i32 s13, 0
	s_cselect_b64 s[14:15], -1, 0
	s_cmpk_lg_i32 s28, 0x6f
	s_mov_b64 s[0:1], -1
	s_cbranch_scc0 .LBB7_92
; %bb.1:
	s_and_b64 vcc, exec, s[20:21]
	s_cbranch_vccz .LBB7_44
; %bb.2:
	s_andn2_b64 vcc, exec, s[14:15]
	s_cbranch_vccnz .LBB7_43
; %bb.3:
	s_lshl_b32 s2, s13, 1
	s_add_i32 s40, s13, 0xfffffe00
	s_or_b32 s12, s2, 1
	s_add_u32 s3, s18, s22
	s_addc_u32 s24, s19, s23
	s_ashr_i32 s1, s13, 31
	s_mov_b32 s0, s13
	s_lshl_b64 s[0:1], s[0:1], 4
	s_add_u32 s0, s3, s0
	s_addc_u32 s1, s24, s1
	s_add_u32 s0, s16, s0
	s_addc_u32 s1, s17, s1
	v_mov_b32_e32 v1, 0x2000
	s_add_u32 s24, s0, 0xffffe020
	v_add_u32_e32 v2, s13, v0
	v_lshl_or_b32 v1, v0, 4, v1
	v_sub_u32_e32 v30, 0, v0
	s_addc_u32 s25, s1, -1
	v_add_u32_e32 v31, 0xfffffc00, v2
	s_ashr_i32 s33, s2, 31
	v_mov_b32_e32 v19, 0
	s_movk_i32 s42, 0x400
	s_xor_b64 s[26:27], s[8:9], -1
	s_movk_i32 s43, 0x401
	s_movk_i32 s44, 0x402
	;; [unrolled: 1-line block ×3, first 2 shown]
	s_mov_b64 s[28:29], 0x2000
	s_mov_b64 s[30:31], 0x200
	s_branch .LBB7_5
.LBB7_4:                                ;   in Loop: Header=BB7_5 Depth=1
	s_or_b64 exec, exec, s[34:35]
	s_add_u32 s24, s24, 0xffffe000
	s_addc_u32 s25, s25, -1
	v_add_u32_e32 v31, 0xfffffe00, v31
	s_andn2_b64 vcc, exec, s[2:3]
	s_mov_b32 s40, s46
	s_barrier
	s_cbranch_vccz .LBB7_43
.LBB7_5:                                ; =>This Loop Header: Depth=1
                                        ;     Child Loop BB7_9 Depth 2
                                        ;     Child Loop BB7_21 Depth 2
                                        ;       Child Loop BB7_24 Depth 3
	v_add_u32_e32 v32, s40, v0
	v_cmp_gt_i32_e64 s[2:3], 0, v32
	v_cmp_lt_i32_e64 s[0:1], -1, v32
	s_and_saveexec_b64 s[34:35], s[0:1]
	s_cbranch_execz .LBB7_7
; %bb.6:                                ;   in Loop: Header=BB7_5 Depth=1
	v_mad_u64_u32 v[2:3], s[36:37], s6, v32, 0
	v_mov_b32_e32 v4, v3
	v_mad_u64_u32 v[4:5], s[36:37], s7, v32, v[4:5]
	v_mov_b32_e32 v3, v4
	v_lshl_add_u64 v[2:3], v[2:3], 4, s[4:5]
	global_load_dwordx4 v[2:5], v[2:3], off
	s_waitcnt vmcnt(0)
	ds_write2_b64 v1, v[2:3], v[4:5] offset1:1
.LBB7_7:                                ;   in Loop: Header=BB7_5 Depth=1
	s_or_b64 exec, exec, s[34:35]
	v_sub_u32_e32 v2, s12, v32
	v_ashrrev_i32_e32 v5, 31, v2
	v_mad_u64_u32 v[2:3], s[34:35], v32, v2, 0
	v_mov_b32_e32 v4, v3
	v_mad_u64_u32 v[4:5], s[34:35], v32, v5, v[4:5]
	v_mov_b32_e32 v3, v4
	v_lshlrev_b64 v[2:3], 3, v[2:3]
	v_and_b32_e32 v2, -16, v2
	s_or_b64 s[34:35], s[8:9], s[2:3]
	s_not_b32 s41, s40
	v_lshl_add_u64 v[14:15], s[10:11], 0, v[2:3]
	s_movk_i32 s46, 0x1ff
	s_movk_i32 s47, 0x3ff0
	s_xor_b64 s[34:35], s[34:35], -1
	s_waitcnt lgkmcnt(0)
	s_barrier
	s_branch .LBB7_9
.LBB7_8:                                ;   in Loop: Header=BB7_9 Depth=2
	s_or_b64 exec, exec, s[36:37]
	s_add_i32 s46, s46, -1
	s_add_i32 s47, s47, -16
	s_cmp_eq_u32 s46, -1
	s_cbranch_scc1 .LBB7_17
.LBB7_9:                                ;   Parent Loop BB7_5 Depth=1
                                        ; =>  This Inner Loop Header: Depth=2
	v_add_u32_e32 v18, s46, v30
	v_cmp_eq_u32_e32 vcc, 0, v18
	s_and_b64 s[38:39], vcc, s[34:35]
	s_and_saveexec_b64 s[36:37], s[38:39]
	s_cbranch_execz .LBB7_15
; %bb.10:                               ;   in Loop: Header=BB7_9 Depth=2
	global_load_dwordx4 v[2:5], v[14:15], off
	ds_read_b128 v[6:9], v1
                                        ; implicit-def: $vgpr10_vgpr11
	s_waitcnt vmcnt(0)
	v_cmp_ngt_f64_e64 s[38:39], |v[2:3]|, |v[4:5]|
	s_and_saveexec_b64 s[48:49], s[38:39]
	s_xor_b64 s[38:39], exec, s[48:49]
	s_cbranch_execz .LBB7_12
; %bb.11:                               ;   in Loop: Header=BB7_9 Depth=2
	v_div_scale_f64 v[10:11], s[48:49], v[4:5], v[4:5], v[2:3]
	v_rcp_f64_e32 v[12:13], v[10:11]
	v_div_scale_f64 v[16:17], vcc, v[2:3], v[4:5], v[2:3]
	v_fma_f64 v[20:21], -v[10:11], v[12:13], 1.0
	v_fmac_f64_e32 v[12:13], v[12:13], v[20:21]
	v_fma_f64 v[20:21], -v[10:11], v[12:13], 1.0
	v_fmac_f64_e32 v[12:13], v[12:13], v[20:21]
	v_mul_f64 v[20:21], v[16:17], v[12:13]
	v_fma_f64 v[10:11], -v[10:11], v[20:21], v[16:17]
	v_div_fmas_f64 v[10:11], v[10:11], v[12:13], v[20:21]
	v_div_fixup_f64 v[12:13], v[10:11], v[4:5], v[2:3]
	v_fmac_f64_e32 v[4:5], v[2:3], v[12:13]
	v_div_scale_f64 v[2:3], s[48:49], v[4:5], v[4:5], 1.0
	v_rcp_f64_e32 v[10:11], v[2:3]
	s_nop 0
	v_fma_f64 v[16:17], -v[2:3], v[10:11], 1.0
	v_fmac_f64_e32 v[10:11], v[10:11], v[16:17]
	v_fma_f64 v[16:17], -v[2:3], v[10:11], 1.0
	v_fmac_f64_e32 v[10:11], v[10:11], v[16:17]
	v_div_scale_f64 v[16:17], vcc, 1.0, v[4:5], 1.0
	v_mul_f64 v[20:21], v[16:17], v[10:11]
	v_fma_f64 v[2:3], -v[2:3], v[20:21], v[16:17]
	s_nop 1
	v_div_fmas_f64 v[2:3], v[2:3], v[10:11], v[20:21]
	v_div_fixup_f64 v[2:3], v[2:3], v[4:5], 1.0
	s_waitcnt lgkmcnt(0)
	v_fma_f64 v[4:5], v[12:13], v[6:7], v[8:9]
	v_mul_f64 v[10:11], v[4:5], v[2:3]
	v_fma_f64 v[4:5], v[12:13], v[8:9], -v[6:7]
	v_mul_f64 v[12:13], v[2:3], v[4:5]
                                        ; implicit-def: $vgpr2_vgpr3
                                        ; implicit-def: $vgpr8_vgpr9
.LBB7_12:                               ;   in Loop: Header=BB7_9 Depth=2
	s_andn2_saveexec_b64 s[38:39], s[38:39]
	s_cbranch_execz .LBB7_14
; %bb.13:                               ;   in Loop: Header=BB7_9 Depth=2
	v_div_scale_f64 v[10:11], s[48:49], v[2:3], v[2:3], v[4:5]
	v_rcp_f64_e32 v[12:13], v[10:11]
	v_div_scale_f64 v[16:17], vcc, v[4:5], v[2:3], v[4:5]
	v_fma_f64 v[20:21], -v[10:11], v[12:13], 1.0
	v_fmac_f64_e32 v[12:13], v[12:13], v[20:21]
	v_fma_f64 v[20:21], -v[10:11], v[12:13], 1.0
	v_fmac_f64_e32 v[12:13], v[12:13], v[20:21]
	v_mul_f64 v[20:21], v[16:17], v[12:13]
	v_fma_f64 v[10:11], -v[10:11], v[20:21], v[16:17]
	v_div_fmas_f64 v[10:11], v[10:11], v[12:13], v[20:21]
	v_div_fixup_f64 v[12:13], v[10:11], v[2:3], v[4:5]
	v_fmac_f64_e32 v[2:3], v[4:5], v[12:13]
	v_div_scale_f64 v[4:5], s[48:49], v[2:3], v[2:3], 1.0
	v_rcp_f64_e32 v[10:11], v[4:5]
	s_nop 0
	v_fma_f64 v[16:17], -v[4:5], v[10:11], 1.0
	v_fmac_f64_e32 v[10:11], v[10:11], v[16:17]
	v_fma_f64 v[16:17], -v[4:5], v[10:11], 1.0
	v_fmac_f64_e32 v[10:11], v[10:11], v[16:17]
	v_div_scale_f64 v[16:17], vcc, 1.0, v[2:3], 1.0
	v_mul_f64 v[20:21], v[16:17], v[10:11]
	v_fma_f64 v[4:5], -v[4:5], v[20:21], v[16:17]
	s_nop 1
	v_div_fmas_f64 v[4:5], v[4:5], v[10:11], v[20:21]
	v_div_fixup_f64 v[2:3], v[4:5], v[2:3], 1.0
	s_waitcnt lgkmcnt(0)
	v_fma_f64 v[4:5], v[12:13], v[8:9], v[6:7]
	v_mul_f64 v[10:11], v[2:3], v[4:5]
	v_fma_f64 v[4:5], -v[12:13], v[6:7], v[8:9]
	v_mul_f64 v[12:13], v[4:5], v[2:3]
.LBB7_14:                               ;   in Loop: Header=BB7_9 Depth=2
	s_or_b64 exec, exec, s[38:39]
	ds_write_b128 v1, v[10:13]
.LBB7_15:                               ;   in Loop: Header=BB7_9 Depth=2
	s_or_b64 exec, exec, s[36:37]
	s_cmp_le_i32 s46, s41
	v_cmp_le_u32_e32 vcc, s46, v0
	s_cselect_b64 s[36:37], -1, 0
	s_or_b64 s[36:37], vcc, s[36:37]
	s_nor_b64 s[38:39], s[2:3], s[36:37]
	s_waitcnt lgkmcnt(0)
	s_barrier
	s_and_saveexec_b64 s[36:37], s[38:39]
	s_cbranch_execz .LBB7_8
; %bb.16:                               ;   in Loop: Header=BB7_9 Depth=2
	v_lshl_add_u64 v[2:3], v[18:19], 4, v[14:15]
	global_load_dwordx4 v[2:5], v[2:3], off
	v_mov_b32_e32 v6, s47
	ds_read_b128 v[6:9], v6
	ds_read_b128 v[10:13], v1
	s_waitcnt vmcnt(0) lgkmcnt(1)
	v_mul_f64 v[16:17], v[4:5], v[8:9]
	v_mul_f64 v[8:9], v[2:3], v[8:9]
	v_fma_f64 v[2:3], v[2:3], v[6:7], -v[16:17]
	v_fmac_f64_e32 v[8:9], v[4:5], v[6:7]
	s_waitcnt lgkmcnt(0)
	v_add_f64 v[2:3], v[10:11], -v[2:3]
	v_add_f64 v[4:5], v[12:13], -v[8:9]
	ds_write_b128 v1, v[2:5]
	s_branch .LBB7_8
.LBB7_17:                               ;   in Loop: Header=BB7_5 Depth=1
	s_add_i32 s46, s40, 0xfffffe00
	s_cmp_lt_i32 s40, 1
	s_cselect_b64 s[2:3], -1, 0
	s_and_b64 vcc, exec, s[2:3]
	s_waitcnt lgkmcnt(0)
	s_barrier
	s_cbranch_vccnz .LBB7_41
; %bb.18:                               ;   in Loop: Header=BB7_5 Depth=1
	v_ashrrev_i32_e32 v2, 31, v31
	v_mad_i64_i32 v[20:21], s[34:35], v31, -16, s[24:25]
	v_mov_b32_e32 v3, s33
	v_sub_co_u32_e32 v22, vcc, s12, v31
	s_mov_b64 s[34:35], 0
	s_nop 0
	v_subb_co_u32_e32 v23, vcc, v3, v2, vcc
	v_mov_b32_e32 v18, v31
	v_mov_b32_e32 v33, v0
	s_mov_b32 s47, s46
                                        ; implicit-def: $sgpr36_sgpr37
	s_branch .LBB7_21
.LBB7_19:                               ;   in Loop: Header=BB7_21 Depth=2
	v_mad_u64_u32 v[2:3], s[40:41], s6, v34, 0
	v_mov_b32_e32 v4, v3
	v_mad_u64_u32 v[4:5], s[40:41], s7, v34, v[4:5]
	v_mov_b32_e32 v3, v4
	v_lshl_add_u64 v[6:7], v[2:3], 4, s[4:5]
	global_load_dwordx4 v[2:5], v[6:7], off
	s_add_i32 s48, s47, 0xfffffe00
	s_cmp_lt_i32 s47, 1
	s_cselect_b64 s[40:41], -1, 0
	s_andn2_b64 s[36:37], s[36:37], exec
	s_and_b64 s[40:41], s[40:41], exec
	v_add_u32_e32 v33, 0xfffffe00, v33
	v_lshl_add_u64 v[20:21], v[20:21], 0, s[28:29]
	v_lshl_add_u64 v[22:23], v[22:23], 0, s[30:31]
	v_add_u32_e32 v18, 0xfffffe00, v18
	s_or_b64 s[36:37], s[36:37], s[40:41]
	s_mov_b32 s47, s48
	s_waitcnt vmcnt(0)
	v_add_f64 v[2:3], v[2:3], -v[26:27]
	v_add_f64 v[4:5], v[4:5], -v[24:25]
	global_store_dwordx4 v[6:7], v[2:5], off
.LBB7_20:                               ;   in Loop: Header=BB7_21 Depth=2
	s_or_b64 exec, exec, s[38:39]
	s_and_b64 s[38:39], exec, s[36:37]
	s_or_b64 s[34:35], s[38:39], s[34:35]
	s_andn2_b64 exec, exec, s[34:35]
	s_cbranch_execz .LBB7_40
.LBB7_21:                               ;   Parent Loop BB7_5 Depth=1
                                        ; =>  This Loop Header: Depth=2
                                        ;       Child Loop BB7_24 Depth 3
	v_add_u32_e32 v34, s47, v0
	v_cmp_lt_i32_e32 vcc, -1, v34
	s_or_b64 s[36:37], s[36:37], exec
	s_and_saveexec_b64 s[38:39], vcc
	s_cbranch_execz .LBB7_20
; %bb.22:                               ;   in Loop: Header=BB7_21 Depth=2
	v_mad_u64_u32 v[2:3], s[40:41], v22, v18, 0
	v_mov_b32_e32 v4, v3
	v_mad_u64_u32 v[4:5], s[40:41], v23, v18, v[4:5]
	v_mov_b32_e32 v3, v4
	v_lshlrev_b64 v[2:3], 3, v[2:3]
	v_and_b32_e32 v2, -16, v2
	v_lshl_add_u64 v[28:29], v[20:21], 0, v[2:3]
	v_mov_b64_e32 v[24:25], 0
	s_movk_i32 s48, 0x2000
	s_movk_i32 s49, 0x200
	v_mov_b64_e32 v[26:27], 0
	s_branch .LBB7_24
.LBB7_23:                               ;   in Loop: Header=BB7_24 Depth=3
	s_or_b64 exec, exec, s[40:41]
	s_waitcnt lgkmcnt(0)
	v_add_f64 v[4:5], v[24:25], v[4:5]
	v_add_f64 v[2:3], v[26:27], v[2:3]
	;; [unrolled: 1-line block ×6, first 2 shown]
	s_add_i32 s48, s48, 64
	s_add_i32 s49, s49, -4
	v_add_f64 v[24:25], v[4:5], v[16:17]
	v_add_f64 v[26:27], v[2:3], v[14:15]
	s_cmp_eq_u32 s49, 0
	v_lshl_add_u64 v[28:29], v[28:29], 0, 64
	s_cbranch_scc1 .LBB7_19
.LBB7_24:                               ;   Parent Loop BB7_5 Depth=1
                                        ;     Parent Loop BB7_21 Depth=2
                                        ; =>    This Inner Loop Header: Depth=3
	v_add_u32_e32 v14, s49, v33
	v_cmp_ne_u32_e32 vcc, s42, v14
	s_or_b64 s[40:41], s[26:27], vcc
                                        ; implicit-def: $vgpr4_vgpr5
	s_and_saveexec_b64 s[50:51], s[40:41]
	s_xor_b64 s[40:41], exec, s[50:51]
	s_cbranch_execz .LBB7_26
; %bb.25:                               ;   in Loop: Header=BB7_24 Depth=3
	global_load_dwordx4 v[6:9], v[28:29], off offset:-32
	v_mov_b32_e32 v2, s48
	ds_read_b128 v[10:13], v2
	s_waitcnt vmcnt(0) lgkmcnt(0)
	v_mul_f64 v[2:3], v[8:9], v[12:13]
	v_mul_f64 v[4:5], v[6:7], v[12:13]
	v_fma_f64 v[2:3], v[6:7], v[10:11], -v[2:3]
	v_fmac_f64_e32 v[4:5], v[8:9], v[10:11]
.LBB7_26:                               ;   in Loop: Header=BB7_24 Depth=3
	s_andn2_saveexec_b64 s[40:41], s[40:41]
; %bb.27:                               ;   in Loop: Header=BB7_24 Depth=3
	v_mov_b32_e32 v2, s48
	ds_read_b128 v[2:5], v2
; %bb.28:                               ;   in Loop: Header=BB7_24 Depth=3
	s_or_b64 exec, exec, s[40:41]
	v_cmp_ne_u32_e32 vcc, s43, v14
	s_or_b64 s[40:41], s[26:27], vcc
                                        ; implicit-def: $vgpr8_vgpr9
	s_and_saveexec_b64 s[50:51], s[40:41]
	s_xor_b64 s[40:41], exec, s[50:51]
	s_cbranch_execz .LBB7_30
; %bb.29:                               ;   in Loop: Header=BB7_24 Depth=3
	global_load_dwordx4 v[10:13], v[28:29], off offset:-16
	v_mov_b32_e32 v6, s48
	ds_read_b128 v[36:39], v6 offset:16
	s_waitcnt vmcnt(0) lgkmcnt(0)
	v_mul_f64 v[6:7], v[12:13], v[38:39]
	v_mul_f64 v[8:9], v[10:11], v[38:39]
	v_fma_f64 v[6:7], v[10:11], v[36:37], -v[6:7]
	v_fmac_f64_e32 v[8:9], v[12:13], v[36:37]
.LBB7_30:                               ;   in Loop: Header=BB7_24 Depth=3
	s_andn2_saveexec_b64 s[40:41], s[40:41]
; %bb.31:                               ;   in Loop: Header=BB7_24 Depth=3
	v_mov_b32_e32 v6, s48
	ds_read_b128 v[6:9], v6 offset:16
; %bb.32:                               ;   in Loop: Header=BB7_24 Depth=3
	s_or_b64 exec, exec, s[40:41]
	v_cmp_ne_u32_e32 vcc, s44, v14
	s_or_b64 s[40:41], s[26:27], vcc
                                        ; implicit-def: $vgpr12_vgpr13
	s_and_saveexec_b64 s[50:51], s[40:41]
	s_xor_b64 s[40:41], exec, s[50:51]
	s_cbranch_execz .LBB7_34
; %bb.33:                               ;   in Loop: Header=BB7_24 Depth=3
	global_load_dwordx4 v[36:39], v[28:29], off
	v_mov_b32_e32 v10, s48
	ds_read_b128 v[40:43], v10 offset:32
	s_waitcnt vmcnt(0) lgkmcnt(0)
	v_mul_f64 v[10:11], v[38:39], v[42:43]
	v_mul_f64 v[12:13], v[36:37], v[42:43]
	v_fma_f64 v[10:11], v[36:37], v[40:41], -v[10:11]
	v_fmac_f64_e32 v[12:13], v[38:39], v[40:41]
.LBB7_34:                               ;   in Loop: Header=BB7_24 Depth=3
	s_andn2_saveexec_b64 s[40:41], s[40:41]
; %bb.35:                               ;   in Loop: Header=BB7_24 Depth=3
	v_mov_b32_e32 v10, s48
	ds_read_b128 v[10:13], v10 offset:32
; %bb.36:                               ;   in Loop: Header=BB7_24 Depth=3
	s_or_b64 exec, exec, s[40:41]
	v_cmp_ne_u32_e32 vcc, s45, v14
	s_or_b64 s[40:41], s[26:27], vcc
                                        ; implicit-def: $vgpr16_vgpr17
	s_and_saveexec_b64 s[50:51], s[40:41]
	s_xor_b64 s[40:41], exec, s[50:51]
	s_cbranch_execz .LBB7_38
; %bb.37:                               ;   in Loop: Header=BB7_24 Depth=3
	global_load_dwordx4 v[36:39], v[28:29], off offset:16
	v_mov_b32_e32 v14, s48
	ds_read_b128 v[40:43], v14 offset:48
	s_waitcnt vmcnt(0) lgkmcnt(0)
	v_mul_f64 v[14:15], v[38:39], v[42:43]
	v_mul_f64 v[16:17], v[36:37], v[42:43]
	v_fma_f64 v[14:15], v[36:37], v[40:41], -v[14:15]
	v_fmac_f64_e32 v[16:17], v[38:39], v[40:41]
.LBB7_38:                               ;   in Loop: Header=BB7_24 Depth=3
	s_andn2_saveexec_b64 s[40:41], s[40:41]
	s_cbranch_execz .LBB7_23
; %bb.39:                               ;   in Loop: Header=BB7_24 Depth=3
	v_mov_b32_e32 v14, s48
	ds_read_b128 v[14:17], v14 offset:48
	s_branch .LBB7_23
.LBB7_40:                               ;   in Loop: Header=BB7_5 Depth=1
	s_or_b64 exec, exec, s[34:35]
.LBB7_41:                               ;   in Loop: Header=BB7_5 Depth=1
	s_and_saveexec_b64 s[34:35], s[0:1]
	s_cbranch_execz .LBB7_4
; %bb.42:                               ;   in Loop: Header=BB7_5 Depth=1
	v_mad_u64_u32 v[6:7], s[0:1], s6, v32, 0
	ds_read2_b64 v[2:5], v1 offset1:1
	v_mov_b32_e32 v8, v7
	v_mad_u64_u32 v[8:9], s[0:1], s7, v32, v[8:9]
	v_mov_b32_e32 v7, v8
	v_lshl_add_u64 v[6:7], v[6:7], 4, s[4:5]
	s_waitcnt lgkmcnt(0)
	global_store_dwordx4 v[6:7], v[2:5], off
	s_branch .LBB7_4
.LBB7_43:
	s_mov_b64 s[0:1], 0
.LBB7_44:
	s_andn2_b64 vcc, exec, s[0:1]
	s_cbranch_vccnz .LBB7_91
; %bb.45:
	s_andn2_b64 vcc, exec, s[14:15]
	s_cbranch_vccnz .LBB7_91
; %bb.46:
	s_add_u32 s0, s18, s22
	s_addc_u32 s1, s19, s23
	s_add_u32 s2, s16, s0
	v_mov_b32_e32 v15, 0
	s_addc_u32 s3, s17, s1
	v_mov_b32_e32 v1, v15
	s_add_u32 s24, s2, 8
	v_mad_u64_u32 v[16:17], s[0:1], v0, v0, v[0:1]
	s_addc_u32 s25, s3, 0
	v_lshlrev_b32_e32 v14, 10, v0
	s_mov_b64 s[0:1], 0x40200
	v_lshl_add_u64 v[18:19], v[14:15], 0, s[0:1]
	v_or_b32_e32 v14, 0x200, v0
	s_add_u32 s26, s2, 56
	v_lshlrev_b32_e32 v26, 4, v0
	s_mov_b32 s12, 0
	v_add_u32_e32 v1, 0x201, v0
	s_addc_u32 s27, s3, 0
	s_xor_b64 s[28:29], s[8:9], -1
	s_mov_b64 s[30:31], 0x200
	s_mov_b64 s[34:35], 0x80000
	v_mov_b64_e32 v[20:21], v[14:15]
	s_branch .LBB7_48
.LBB7_47:                               ;   in Loop: Header=BB7_48 Depth=1
	s_or_b64 exec, exec, s[36:37]
	s_add_u32 s24, s24, 0x2000
	s_addc_u32 s25, s25, 0
	v_lshl_add_u64 v[2:3], v[18:19], 0, s[34:35]
	s_add_u32 s26, s26, 0x2000
	v_lshl_add_u64 v[16:17], v[16:17], 0, v[18:19]
	v_lshl_add_u64 v[20:21], v[20:21], 0, s[30:31]
	v_add_u32_e32 v1, 0x200, v1
	s_addc_u32 s27, s27, 0
	s_and_b64 vcc, exec, s[2:3]
	v_mov_b64_e32 v[18:19], v[2:3]
	s_mov_b32 s12, s33
	s_barrier
	s_cbranch_vccnz .LBB7_91
.LBB7_48:                               ; =>This Loop Header: Depth=1
                                        ;     Child Loop BB7_52 Depth 2
                                        ;     Child Loop BB7_65 Depth 2
                                        ;       Child Loop BB7_68 Depth 3
	v_add_u32_e32 v27, s12, v0
	v_cmp_le_i32_e32 vcc, s13, v27
	v_cmp_gt_i32_e64 s[0:1], s13, v27
	s_and_saveexec_b64 s[2:3], s[0:1]
	s_cbranch_execz .LBB7_50
; %bb.49:                               ;   in Loop: Header=BB7_48 Depth=1
	v_mad_u64_u32 v[2:3], s[36:37], s6, v27, 0
	v_mov_b32_e32 v4, v3
	v_mad_u64_u32 v[4:5], s[36:37], s7, v27, v[4:5]
	v_mov_b32_e32 v3, v4
	v_lshl_add_u64 v[2:3], v[2:3], 4, s[4:5]
	global_load_dwordx4 v[2:5], v[2:3], off
	s_waitcnt vmcnt(0)
	ds_write2_b64 v26, v[2:3], v[4:5] offset1:1
.LBB7_50:                               ;   in Loop: Header=BB7_48 Depth=1
	s_or_b64 exec, exec, s[2:3]
	v_lshlrev_b64 v[2:3], 3, v[16:17]
	v_and_b32_e32 v2, -16, v2
	v_or_b32_e32 v14, s12, v0
	v_lshl_add_u64 v[22:23], s[24:25], 0, v[2:3]
	v_add_u32_e32 v2, 1, v14
	v_mad_u64_u32 v[2:3], s[36:37], v2, v14, 0
	v_lshlrev_b64 v[2:3], 3, v[2:3]
	v_lshl_add_u64 v[4:5], v[14:15], 4, s[10:11]
	v_and_b32_e32 v2, -16, v2
	v_cmp_le_i32_e64 s[2:3], s13, v14
	v_lshl_add_u64 v[24:25], v[4:5], 0, v[2:3]
	s_mov_b32 s33, 0
	s_xor_b64 s[36:37], vcc, -1
	s_mov_b32 s42, 0
	s_waitcnt lgkmcnt(0)
	s_barrier
	s_branch .LBB7_52
.LBB7_51:                               ;   in Loop: Header=BB7_52 Depth=2
	s_or_b64 exec, exec, s[38:39]
	s_add_i32 s42, s42, 1
	s_add_i32 s33, s33, 16
	s_cmpk_eq_i32 s42, 0x200
	v_lshl_add_u64 v[22:23], v[22:23], 0, 16
	s_cbranch_scc1 .LBB7_61
.LBB7_52:                               ;   Parent Loop BB7_48 Depth=1
                                        ; =>  This Inner Loop Header: Depth=2
	v_cmp_ne_u32_e32 vcc, s42, v0
	s_or_b64 s[38:39], s[8:9], vcc
	s_nor_b64 s[40:41], s[38:39], s[2:3]
	s_and_saveexec_b64 s[38:39], s[40:41]
	s_cbranch_execz .LBB7_58
; %bb.53:                               ;   in Loop: Header=BB7_52 Depth=2
	global_load_dwordx4 v[2:5], v[24:25], off
	ds_read_b128 v[6:9], v26
                                        ; implicit-def: $vgpr10_vgpr11
	s_waitcnt vmcnt(0)
	v_cmp_ngt_f64_e64 s[40:41], |v[2:3]|, |v[4:5]|
	s_and_saveexec_b64 s[44:45], s[40:41]
	s_xor_b64 s[40:41], exec, s[44:45]
	s_cbranch_execz .LBB7_55
; %bb.54:                               ;   in Loop: Header=BB7_52 Depth=2
	v_div_scale_f64 v[10:11], s[44:45], v[4:5], v[4:5], v[2:3]
	v_rcp_f64_e32 v[12:13], v[10:11]
	v_div_scale_f64 v[28:29], vcc, v[2:3], v[4:5], v[2:3]
	v_fma_f64 v[30:31], -v[10:11], v[12:13], 1.0
	v_fmac_f64_e32 v[12:13], v[12:13], v[30:31]
	v_fma_f64 v[30:31], -v[10:11], v[12:13], 1.0
	v_fmac_f64_e32 v[12:13], v[12:13], v[30:31]
	v_mul_f64 v[30:31], v[28:29], v[12:13]
	v_fma_f64 v[10:11], -v[10:11], v[30:31], v[28:29]
	v_div_fmas_f64 v[10:11], v[10:11], v[12:13], v[30:31]
	v_div_fixup_f64 v[12:13], v[10:11], v[4:5], v[2:3]
	v_fmac_f64_e32 v[4:5], v[2:3], v[12:13]
	v_div_scale_f64 v[2:3], s[44:45], v[4:5], v[4:5], 1.0
	v_rcp_f64_e32 v[10:11], v[2:3]
	s_nop 0
	v_fma_f64 v[28:29], -v[2:3], v[10:11], 1.0
	v_fmac_f64_e32 v[10:11], v[10:11], v[28:29]
	v_fma_f64 v[28:29], -v[2:3], v[10:11], 1.0
	v_fmac_f64_e32 v[10:11], v[10:11], v[28:29]
	v_div_scale_f64 v[28:29], vcc, 1.0, v[4:5], 1.0
	v_mul_f64 v[30:31], v[28:29], v[10:11]
	v_fma_f64 v[2:3], -v[2:3], v[30:31], v[28:29]
	s_nop 1
	v_div_fmas_f64 v[2:3], v[2:3], v[10:11], v[30:31]
	v_div_fixup_f64 v[2:3], v[2:3], v[4:5], 1.0
	s_waitcnt lgkmcnt(0)
	v_fma_f64 v[4:5], v[12:13], v[6:7], v[8:9]
	v_mul_f64 v[10:11], v[4:5], v[2:3]
	v_fma_f64 v[4:5], v[12:13], v[8:9], -v[6:7]
	v_mul_f64 v[12:13], v[2:3], v[4:5]
                                        ; implicit-def: $vgpr2_vgpr3
                                        ; implicit-def: $vgpr8_vgpr9
.LBB7_55:                               ;   in Loop: Header=BB7_52 Depth=2
	s_andn2_saveexec_b64 s[40:41], s[40:41]
	s_cbranch_execz .LBB7_57
; %bb.56:                               ;   in Loop: Header=BB7_52 Depth=2
	v_div_scale_f64 v[10:11], s[44:45], v[2:3], v[2:3], v[4:5]
	v_rcp_f64_e32 v[12:13], v[10:11]
	v_div_scale_f64 v[28:29], vcc, v[4:5], v[2:3], v[4:5]
	v_fma_f64 v[30:31], -v[10:11], v[12:13], 1.0
	v_fmac_f64_e32 v[12:13], v[12:13], v[30:31]
	v_fma_f64 v[30:31], -v[10:11], v[12:13], 1.0
	v_fmac_f64_e32 v[12:13], v[12:13], v[30:31]
	v_mul_f64 v[30:31], v[28:29], v[12:13]
	v_fma_f64 v[10:11], -v[10:11], v[30:31], v[28:29]
	v_div_fmas_f64 v[10:11], v[10:11], v[12:13], v[30:31]
	v_div_fixup_f64 v[12:13], v[10:11], v[2:3], v[4:5]
	v_fmac_f64_e32 v[2:3], v[4:5], v[12:13]
	v_div_scale_f64 v[4:5], s[44:45], v[2:3], v[2:3], 1.0
	v_rcp_f64_e32 v[10:11], v[4:5]
	s_nop 0
	v_fma_f64 v[28:29], -v[4:5], v[10:11], 1.0
	v_fmac_f64_e32 v[10:11], v[10:11], v[28:29]
	v_fma_f64 v[28:29], -v[4:5], v[10:11], 1.0
	v_fmac_f64_e32 v[10:11], v[10:11], v[28:29]
	v_div_scale_f64 v[28:29], vcc, 1.0, v[2:3], 1.0
	v_mul_f64 v[30:31], v[28:29], v[10:11]
	v_fma_f64 v[4:5], -v[4:5], v[30:31], v[28:29]
	s_nop 1
	v_div_fmas_f64 v[4:5], v[4:5], v[10:11], v[30:31]
	v_div_fixup_f64 v[2:3], v[4:5], v[2:3], 1.0
	s_waitcnt lgkmcnt(0)
	v_fma_f64 v[4:5], v[12:13], v[8:9], v[6:7]
	v_mul_f64 v[10:11], v[2:3], v[4:5]
	v_fma_f64 v[4:5], -v[12:13], v[6:7], v[8:9]
	v_mul_f64 v[12:13], v[4:5], v[2:3]
.LBB7_57:                               ;   in Loop: Header=BB7_52 Depth=2
	s_or_b64 exec, exec, s[40:41]
	ds_write_b128 v26, v[10:13]
.LBB7_58:                               ;   in Loop: Header=BB7_52 Depth=2
	s_or_b64 exec, exec, s[38:39]
	v_cmp_lt_u32_e32 vcc, s42, v0
	s_waitcnt lgkmcnt(0)
	s_barrier
	s_and_saveexec_b64 s[38:39], vcc
	s_cbranch_execz .LBB7_51
; %bb.59:                               ;   in Loop: Header=BB7_52 Depth=2
	s_add_i32 s40, s12, s42
	s_cmp_lt_i32 s40, s13
	s_cselect_b64 s[40:41], -1, 0
	s_and_b64 s[40:41], s[36:37], s[40:41]
	s_and_b64 exec, exec, s[40:41]
	s_cbranch_execz .LBB7_51
; %bb.60:                               ;   in Loop: Header=BB7_52 Depth=2
	global_load_dwordx4 v[2:5], v[22:23], off offset:-8
	v_mov_b32_e32 v6, s33
	ds_read_b128 v[6:9], v6
	ds_read_b128 v[10:13], v26
	s_waitcnt vmcnt(0) lgkmcnt(1)
	v_mul_f64 v[28:29], v[4:5], v[8:9]
	v_mul_f64 v[8:9], v[2:3], v[8:9]
	v_fma_f64 v[2:3], v[2:3], v[6:7], -v[28:29]
	v_fmac_f64_e32 v[8:9], v[4:5], v[6:7]
	s_waitcnt lgkmcnt(0)
	v_add_f64 v[2:3], v[10:11], -v[2:3]
	v_add_f64 v[4:5], v[12:13], -v[8:9]
	ds_write_b128 v26, v[2:5]
	s_branch .LBB7_51
.LBB7_61:                               ;   in Loop: Header=BB7_48 Depth=1
	s_add_i32 s33, s12, 0x200
	s_cmp_ge_i32 s33, s13
	s_cselect_b64 s[2:3], -1, 0
	s_and_b64 vcc, exec, s[2:3]
	s_waitcnt lgkmcnt(0)
	s_barrier
	s_cbranch_vccnz .LBB7_89
; %bb.62:                               ;   in Loop: Header=BB7_48 Depth=1
	s_mov_b64 s[36:37], 0
	v_mov_b32_e32 v10, v1
	v_mov_b64_e32 v[2:3], v[20:21]
	v_mov_b32_e32 v11, v0
	s_mov_b32 s46, s33
                                        ; implicit-def: $sgpr38_sgpr39
	s_branch .LBB7_65
.LBB7_63:                               ;   in Loop: Header=BB7_65 Depth=2
	v_mad_u64_u32 v[8:9], s[42:43], s6, v12, 0
	v_mov_b32_e32 v14, v9
	v_mad_u64_u32 v[12:13], s[42:43], s7, v12, v[14:15]
	v_mov_b32_e32 v9, v12
	v_lshl_add_u64 v[12:13], v[8:9], 4, s[4:5]
	global_load_dwordx4 v[22:25], v[12:13], off
	s_addk_i32 s46, 0x200
	s_cmp_ge_i32 s46, s13
	s_cselect_b64 s[42:43], -1, 0
	s_andn2_b64 s[38:39], s[38:39], exec
	s_and_b64 s[42:43], s[42:43], exec
	v_lshl_add_u64 v[2:3], v[2:3], 0, s[30:31]
	v_add_u32_e32 v10, 0x200, v10
	s_or_b64 s[38:39], s[38:39], s[42:43]
	s_waitcnt vmcnt(0)
	v_add_f64 v[6:7], v[22:23], -v[6:7]
	v_add_f64 v[8:9], v[24:25], -v[4:5]
	global_store_dwordx4 v[12:13], v[6:9], off
.LBB7_64:                               ;   in Loop: Header=BB7_65 Depth=2
	s_or_b64 exec, exec, s[40:41]
	s_and_b64 s[40:41], exec, s[38:39]
	s_or_b64 s[36:37], s[40:41], s[36:37]
	s_andn2_b64 exec, exec, s[36:37]
	s_cbranch_execz .LBB7_88
.LBB7_65:                               ;   Parent Loop BB7_48 Depth=1
                                        ; =>  This Loop Header: Depth=2
                                        ;       Child Loop BB7_68 Depth 3
	v_add_u32_e32 v12, s46, v0
	v_cmp_gt_i32_e32 vcc, s13, v12
	s_or_b64 s[38:39], s[38:39], exec
	s_and_saveexec_b64 s[40:41], vcc
	s_cbranch_execz .LBB7_64
; %bb.66:                               ;   in Loop: Header=BB7_65 Depth=2
	v_mad_u64_u32 v[4:5], s[42:43], v2, v10, 0
	v_mov_b32_e32 v6, v5
	v_mad_u64_u32 v[6:7], s[42:43], v3, v10, v[6:7]
	v_mov_b32_e32 v5, v6
	v_lshlrev_b64 v[8:9], 3, v[4:5]
	v_and_b32_e32 v8, -16, v8
	v_add_u32_e32 v13, 0x1fd, v11
	v_add_u32_e32 v14, 0x1fe, v11
	;; [unrolled: 1-line block ×4, first 2 shown]
	v_mov_b64_e32 v[4:5], 0
	s_mov_b32 s47, 0
	s_mov_b64 s[42:43], s[26:27]
	s_mov_b32 s48, 0
	v_mov_b64_e32 v[6:7], 0
	s_branch .LBB7_68
.LBB7_67:                               ;   in Loop: Header=BB7_68 Depth=3
	s_or_b64 exec, exec, s[44:45]
	s_add_i32 s48, s48, 4
	s_add_i32 s47, s47, 64
	s_add_u32 s42, s42, 64
	s_addc_u32 s43, s43, 0
	s_cmpk_eq_i32 s48, 0x200
	s_cbranch_scc1 .LBB7_63
.LBB7_68:                               ;   Parent Loop BB7_48 Depth=1
                                        ;     Parent Loop BB7_65 Depth=2
                                        ; =>    This Inner Loop Header: Depth=3
	v_cmp_ne_u32_e32 vcc, s48, v11
	s_add_i32 s49, s12, s48
	s_or_b64 s[44:45], s[28:29], vcc
	s_and_saveexec_b64 s[50:51], s[44:45]
	s_xor_b64 s[44:45], exec, s[50:51]
	s_cbranch_execz .LBB7_71
; %bb.69:                               ;   in Loop: Header=BB7_68 Depth=3
	s_cmp_ge_i32 s49, s13
	s_cbranch_scc1 .LBB7_71
; %bb.70:                               ;   in Loop: Header=BB7_68 Depth=3
	v_lshl_add_u64 v[24:25], s[42:43], 0, v[8:9]
	global_load_dwordx4 v[28:31], v[24:25], off offset:-56
	v_mov_b32_e32 v23, s47
	ds_read_b128 v[32:35], v23
	s_waitcnt vmcnt(0) lgkmcnt(0)
	v_mul_f64 v[24:25], v[30:31], v[34:35]
	v_mul_f64 v[34:35], v[28:29], v[34:35]
	v_fma_f64 v[24:25], v[28:29], v[32:33], -v[24:25]
	v_fmac_f64_e32 v[34:35], v[30:31], v[32:33]
	v_add_f64 v[6:7], v[6:7], v[24:25]
	v_add_f64 v[4:5], v[4:5], v[34:35]
.LBB7_71:                               ;   in Loop: Header=BB7_68 Depth=3
	s_andn2_saveexec_b64 s[44:45], s[44:45]
	s_cbranch_execz .LBB7_73
; %bb.72:                               ;   in Loop: Header=BB7_68 Depth=3
	v_mov_b32_e32 v23, s47
	ds_read_b128 v[28:31], v23
	s_waitcnt lgkmcnt(0)
	v_add_f64 v[6:7], v[6:7], v[28:29]
	v_add_f64 v[4:5], v[4:5], v[30:31]
.LBB7_73:                               ;   in Loop: Header=BB7_68 Depth=3
	s_or_b64 exec, exec, s[44:45]
	v_cmp_ne_u32_e32 vcc, s48, v22
	s_or_b64 s[44:45], s[28:29], vcc
	s_and_saveexec_b64 s[50:51], s[44:45]
	s_xor_b64 s[44:45], exec, s[50:51]
	s_cbranch_execz .LBB7_76
; %bb.74:                               ;   in Loop: Header=BB7_68 Depth=3
	s_add_i32 s50, s49, 1
	s_cmp_ge_i32 s50, s13
	s_cbranch_scc1 .LBB7_76
; %bb.75:                               ;   in Loop: Header=BB7_68 Depth=3
	v_lshl_add_u64 v[24:25], s[42:43], 0, v[8:9]
	global_load_dwordx4 v[28:31], v[24:25], off offset:-40
	v_mov_b32_e32 v23, s47
	ds_read_b128 v[32:35], v23 offset:16
	s_waitcnt vmcnt(0) lgkmcnt(0)
	v_mul_f64 v[24:25], v[30:31], v[34:35]
	v_mul_f64 v[34:35], v[28:29], v[34:35]
	v_fma_f64 v[24:25], v[28:29], v[32:33], -v[24:25]
	v_fmac_f64_e32 v[34:35], v[30:31], v[32:33]
	v_add_f64 v[6:7], v[6:7], v[24:25]
	v_add_f64 v[4:5], v[4:5], v[34:35]
.LBB7_76:                               ;   in Loop: Header=BB7_68 Depth=3
	s_andn2_saveexec_b64 s[44:45], s[44:45]
	s_cbranch_execz .LBB7_78
; %bb.77:                               ;   in Loop: Header=BB7_68 Depth=3
	v_mov_b32_e32 v23, s47
	ds_read_b128 v[28:31], v23 offset:16
	s_waitcnt lgkmcnt(0)
	v_add_f64 v[6:7], v[6:7], v[28:29]
	v_add_f64 v[4:5], v[4:5], v[30:31]
.LBB7_78:                               ;   in Loop: Header=BB7_68 Depth=3
	s_or_b64 exec, exec, s[44:45]
	v_cmp_ne_u32_e32 vcc, s48, v14
	s_or_b64 s[44:45], s[28:29], vcc
	s_and_saveexec_b64 s[50:51], s[44:45]
	s_xor_b64 s[44:45], exec, s[50:51]
	s_cbranch_execz .LBB7_81
; %bb.79:                               ;   in Loop: Header=BB7_68 Depth=3
	s_add_i32 s50, s49, 2
	s_cmp_ge_i32 s50, s13
	s_cbranch_scc1 .LBB7_81
; %bb.80:                               ;   in Loop: Header=BB7_68 Depth=3
	v_lshl_add_u64 v[24:25], s[42:43], 0, v[8:9]
	global_load_dwordx4 v[28:31], v[24:25], off offset:-24
	v_mov_b32_e32 v23, s47
	ds_read_b128 v[32:35], v23 offset:32
	s_waitcnt vmcnt(0) lgkmcnt(0)
	v_mul_f64 v[24:25], v[30:31], v[34:35]
	v_mul_f64 v[34:35], v[28:29], v[34:35]
	v_fma_f64 v[24:25], v[28:29], v[32:33], -v[24:25]
	v_fmac_f64_e32 v[34:35], v[30:31], v[32:33]
	v_add_f64 v[6:7], v[6:7], v[24:25]
	v_add_f64 v[4:5], v[4:5], v[34:35]
.LBB7_81:                               ;   in Loop: Header=BB7_68 Depth=3
	s_andn2_saveexec_b64 s[44:45], s[44:45]
	s_cbranch_execz .LBB7_83
; %bb.82:                               ;   in Loop: Header=BB7_68 Depth=3
	v_mov_b32_e32 v23, s47
	ds_read_b128 v[28:31], v23 offset:32
	s_waitcnt lgkmcnt(0)
	v_add_f64 v[6:7], v[6:7], v[28:29]
	v_add_f64 v[4:5], v[4:5], v[30:31]
.LBB7_83:                               ;   in Loop: Header=BB7_68 Depth=3
	s_or_b64 exec, exec, s[44:45]
	v_cmp_ne_u32_e32 vcc, s48, v13
	s_or_b64 s[44:45], s[28:29], vcc
	s_and_saveexec_b64 s[50:51], s[44:45]
	s_xor_b64 s[44:45], exec, s[50:51]
	s_cbranch_execz .LBB7_86
; %bb.84:                               ;   in Loop: Header=BB7_68 Depth=3
	s_add_i32 s49, s49, 3
	s_cmp_ge_i32 s49, s13
	s_cbranch_scc1 .LBB7_86
; %bb.85:                               ;   in Loop: Header=BB7_68 Depth=3
	v_lshl_add_u64 v[24:25], s[42:43], 0, v[8:9]
	global_load_dwordx4 v[28:31], v[24:25], off offset:-8
	v_mov_b32_e32 v23, s47
	ds_read_b128 v[32:35], v23 offset:48
	s_waitcnt vmcnt(0) lgkmcnt(0)
	v_mul_f64 v[24:25], v[30:31], v[34:35]
	v_mul_f64 v[34:35], v[28:29], v[34:35]
	v_fma_f64 v[24:25], v[28:29], v[32:33], -v[24:25]
	v_fmac_f64_e32 v[34:35], v[30:31], v[32:33]
	v_add_f64 v[6:7], v[6:7], v[24:25]
	v_add_f64 v[4:5], v[4:5], v[34:35]
.LBB7_86:                               ;   in Loop: Header=BB7_68 Depth=3
	s_andn2_saveexec_b64 s[44:45], s[44:45]
	s_cbranch_execz .LBB7_67
; %bb.87:                               ;   in Loop: Header=BB7_68 Depth=3
	v_mov_b32_e32 v23, s47
	ds_read_b128 v[28:31], v23 offset:48
	s_waitcnt lgkmcnt(0)
	v_add_f64 v[6:7], v[6:7], v[28:29]
	v_add_f64 v[4:5], v[4:5], v[30:31]
	s_branch .LBB7_67
.LBB7_88:                               ;   in Loop: Header=BB7_48 Depth=1
	s_or_b64 exec, exec, s[36:37]
.LBB7_89:                               ;   in Loop: Header=BB7_48 Depth=1
	s_and_saveexec_b64 s[36:37], s[0:1]
	s_cbranch_execz .LBB7_47
; %bb.90:                               ;   in Loop: Header=BB7_48 Depth=1
	v_mad_u64_u32 v[6:7], s[0:1], s6, v27, 0
	ds_read2_b64 v[2:5], v26 offset1:1
	v_mov_b32_e32 v8, v7
	v_mad_u64_u32 v[8:9], s[0:1], s7, v27, v[8:9]
	v_mov_b32_e32 v7, v8
	v_lshl_add_u64 v[6:7], v[6:7], 4, s[4:5]
	s_waitcnt lgkmcnt(0)
	global_store_dwordx4 v[6:7], v[2:5], off
	s_branch .LBB7_47
.LBB7_91:
	s_mov_b64 s[0:1], 0
.LBB7_92:
	s_andn2_b64 vcc, exec, s[0:1]
	s_cbranch_vccnz .LBB7_166
; %bb.93:
	s_mov_b64 s[0:1], -1
	s_and_b64 vcc, exec, s[20:21]
	s_cbranch_vccz .LBB7_132
; %bb.94:
	s_andn2_b64 vcc, exec, s[14:15]
	s_cbranch_vccnz .LBB7_131
; %bb.95:
	s_lshl_b32 s20, s13, 1
	s_or_b32 s12, s20, 1
	s_ashr_i32 s21, s20, 31
	s_add_u32 s0, s18, s22
	s_addc_u32 s1, s19, s23
	s_add_u32 s0, s16, s0
	s_addc_u32 s1, s17, s1
	s_lshl_b64 s[2:3], s[20:21], 9
	s_add_u32 s44, s2, 0xfffc0200
	s_addc_u32 s45, s3, -1
	s_add_u32 s16, s0, -16
	s_addc_u32 s17, s1, -1
	s_add_u32 s28, s2, 0xfffbfe00
	s_addc_u32 s29, s3, -1
	s_lshl_b64 s[2:3], s[20:21], 1
	s_add_u32 s18, s2, -6
	s_addc_u32 s19, s3, -1
	v_mov_b32_e32 v1, 0
	s_add_u32 s22, s0, 8
	v_lshlrev_b32_e32 v14, 4, v0
	v_mov_b32_e32 v15, v1
	s_addc_u32 s23, s1, 0
	v_lshl_add_u64 v[2:3], s[0:1], 0, v[14:15]
	s_add_u32 s24, s2, -2
	s_movk_i32 s36, 0xffe0
	v_lshl_add_u64 v[16:17], v[2:3], 0, 8
	v_or_b32_e32 v18, 0x200, v0
	s_addc_u32 s25, s3, -1
	s_mov_b64 s[26:27], 0
	s_mov_b64 s[30:31], 0x200
	;; [unrolled: 1-line block ×3, first 2 shown]
	s_mov_b32 s37, -1
	s_mov_b64 s[38:39], 0x2000
	s_mov_b64 s[40:41], 0
	s_mov_b64 s[42:43], s[20:21]
	s_mov_b64 s[46:47], 0
	s_branch .LBB7_97
.LBB7_96:                               ;   in Loop: Header=BB7_97 Depth=1
	s_or_b64 exec, exec, s[46:47]
	s_add_u32 s0, s44, 0xfff80000
	s_addc_u32 s1, s45, -1
	s_add_u32 s26, s26, s44
	s_addc_u32 s27, s27, s45
	s_add_u32 s42, s42, 0xfffffc00
	s_addc_u32 s43, s43, -1
	s_add_u32 s40, s40, 0xfffffe00
	s_addc_u32 s41, s41, -1
	;; [unrolled: 2-line block ×3, first 2 shown]
	s_add_u32 s20, s20, s28
	s_addc_u32 s21, s21, s29
	s_add_u32 s18, s18, 0xfffff800
	s_addc_u32 s19, s19, -1
	s_add_u32 s24, s24, 0xfffff800
	v_add_u32_e32 v18, 0x200, v18
	s_addc_u32 s25, s25, -1
	s_and_b64 vcc, exec, s[48:49]
	s_mov_b64 s[28:29], s[44:45]
	s_mov_b64 s[44:45], s[0:1]
	;; [unrolled: 1-line block ×3, first 2 shown]
	s_barrier
	s_cbranch_vccnz .LBB7_131
.LBB7_97:                               ; =>This Loop Header: Depth=1
                                        ;     Child Loop BB7_101 Depth 2
                                        ;     Child Loop BB7_114 Depth 2
                                        ;       Child Loop BB7_116 Depth 3
	v_add_u32_e32 v15, s46, v0
	v_cmp_le_i32_e32 vcc, s13, v15
	v_cmp_gt_i32_e64 s[0:1], s13, v15
	s_and_saveexec_b64 s[2:3], s[0:1]
	s_cbranch_execz .LBB7_99
; %bb.98:                               ;   in Loop: Header=BB7_97 Depth=1
	v_mad_u64_u32 v[2:3], s[48:49], s6, v15, 0
	v_mov_b32_e32 v4, v3
	v_mad_u64_u32 v[4:5], s[48:49], s7, v15, v[4:5]
	v_mov_b32_e32 v3, v4
	v_lshl_add_u64 v[2:3], v[2:3], 4, s[4:5]
	global_load_dwordx4 v[2:5], v[2:3], off
	s_waitcnt vmcnt(0)
	ds_write2_b64 v14, v[2:3], v[4:5] offset1:1
.LBB7_99:                               ;   in Loop: Header=BB7_97 Depth=1
	s_or_b64 exec, exec, s[2:3]
	v_or_b32_e32 v5, s46, v0
	v_sub_u32_e32 v2, s12, v5
	v_ashrrev_i32_e32 v6, 31, v2
	v_mad_u64_u32 v[2:3], s[48:49], v2, v5, 0
	v_mov_b32_e32 v4, v3
	v_cmp_le_i32_e64 s[2:3], s13, v5
	v_mad_u64_u32 v[4:5], s[48:49], v6, v5, v[4:5]
	v_mov_b32_e32 v3, v4
	v_lshlrev_b64 v[2:3], 3, v[2:3]
	v_and_b32_e32 v2, -16, v2
	v_lshl_add_u64 v[20:21], s[10:11], 0, v[2:3]
	s_mov_b64 s[48:49], 0
	s_mov_b32 s33, 0
	s_xor_b64 s[50:51], vcc, -1
	s_mov_b64 s[52:53], s[26:27]
	s_mov_b64 s[54:55], s[42:43]
	v_mov_b64_e32 v[22:23], v[16:17]
	s_waitcnt lgkmcnt(0)
	s_barrier
	s_branch .LBB7_101
.LBB7_100:                              ;   in Loop: Header=BB7_101 Depth=2
	s_or_b64 exec, exec, s[56:57]
	s_add_u32 s48, s48, 1
	s_addc_u32 s49, s49, 0
	s_add_u32 s56, s54, -2
	s_addc_u32 s57, s55, -1
	s_add_u32 s52, s52, s54
	s_addc_u32 s53, s53, s55
	s_add_i32 s33, s33, 16
	v_lshl_add_u64 v[22:23], v[22:23], 0, -16
	s_cmpk_eq_i32 s48, 0x200
	s_mov_b64 s[54:55], s[56:57]
	s_cbranch_scc1 .LBB7_110
.LBB7_101:                              ;   Parent Loop BB7_97 Depth=1
                                        ; =>  This Inner Loop Header: Depth=2
	v_cmp_ne_u32_e32 vcc, s48, v0
	s_or_b64 s[56:57], s[8:9], vcc
	s_nor_b64 s[58:59], s[56:57], s[2:3]
	s_and_saveexec_b64 s[56:57], s[58:59]
	s_cbranch_execz .LBB7_107
; %bb.102:                              ;   in Loop: Header=BB7_101 Depth=2
	global_load_dwordx4 v[2:5], v[20:21], off
	ds_read_b128 v[6:9], v14
                                        ; implicit-def: $vgpr10_vgpr11
	s_waitcnt vmcnt(0)
	v_cmp_ngt_f64_e64 s[58:59], |v[2:3]|, |v[4:5]|
	s_and_saveexec_b64 s[60:61], s[58:59]
	s_xor_b64 s[58:59], exec, s[60:61]
	s_cbranch_execz .LBB7_104
; %bb.103:                              ;   in Loop: Header=BB7_101 Depth=2
	v_div_scale_f64 v[10:11], s[60:61], v[4:5], v[4:5], v[2:3]
	v_rcp_f64_e32 v[12:13], v[10:11]
	v_div_scale_f64 v[24:25], vcc, v[2:3], v[4:5], v[2:3]
	v_fma_f64 v[26:27], -v[10:11], v[12:13], 1.0
	v_fmac_f64_e32 v[12:13], v[12:13], v[26:27]
	v_fma_f64 v[26:27], -v[10:11], v[12:13], 1.0
	v_fmac_f64_e32 v[12:13], v[12:13], v[26:27]
	v_mul_f64 v[26:27], v[24:25], v[12:13]
	v_fma_f64 v[10:11], -v[10:11], v[26:27], v[24:25]
	v_div_fmas_f64 v[10:11], v[10:11], v[12:13], v[26:27]
	v_div_fixup_f64 v[12:13], v[10:11], v[4:5], v[2:3]
	v_fmac_f64_e32 v[4:5], v[2:3], v[12:13]
	v_div_scale_f64 v[2:3], s[60:61], v[4:5], v[4:5], 1.0
	v_rcp_f64_e32 v[10:11], v[2:3]
	s_nop 0
	v_fma_f64 v[24:25], -v[2:3], v[10:11], 1.0
	v_fmac_f64_e32 v[10:11], v[10:11], v[24:25]
	v_fma_f64 v[24:25], -v[2:3], v[10:11], 1.0
	v_fmac_f64_e32 v[10:11], v[10:11], v[24:25]
	v_div_scale_f64 v[24:25], vcc, 1.0, v[4:5], 1.0
	v_mul_f64 v[26:27], v[24:25], v[10:11]
	v_fma_f64 v[2:3], -v[2:3], v[26:27], v[24:25]
	s_nop 1
	v_div_fmas_f64 v[2:3], v[2:3], v[10:11], v[26:27]
	v_div_fixup_f64 v[2:3], v[2:3], v[4:5], 1.0
	s_waitcnt lgkmcnt(0)
	v_fma_f64 v[4:5], v[12:13], v[6:7], v[8:9]
	v_mul_f64 v[10:11], v[4:5], v[2:3]
	v_fma_f64 v[4:5], v[12:13], v[8:9], -v[6:7]
	v_mul_f64 v[12:13], v[2:3], v[4:5]
                                        ; implicit-def: $vgpr2_vgpr3
                                        ; implicit-def: $vgpr8_vgpr9
.LBB7_104:                              ;   in Loop: Header=BB7_101 Depth=2
	s_andn2_saveexec_b64 s[58:59], s[58:59]
	s_cbranch_execz .LBB7_106
; %bb.105:                              ;   in Loop: Header=BB7_101 Depth=2
	v_div_scale_f64 v[10:11], s[60:61], v[2:3], v[2:3], v[4:5]
	v_rcp_f64_e32 v[12:13], v[10:11]
	v_div_scale_f64 v[24:25], vcc, v[4:5], v[2:3], v[4:5]
	v_fma_f64 v[26:27], -v[10:11], v[12:13], 1.0
	v_fmac_f64_e32 v[12:13], v[12:13], v[26:27]
	v_fma_f64 v[26:27], -v[10:11], v[12:13], 1.0
	v_fmac_f64_e32 v[12:13], v[12:13], v[26:27]
	v_mul_f64 v[26:27], v[24:25], v[12:13]
	v_fma_f64 v[10:11], -v[10:11], v[26:27], v[24:25]
	v_div_fmas_f64 v[10:11], v[10:11], v[12:13], v[26:27]
	v_div_fixup_f64 v[12:13], v[10:11], v[2:3], v[4:5]
	v_fmac_f64_e32 v[2:3], v[4:5], v[12:13]
	v_div_scale_f64 v[4:5], s[60:61], v[2:3], v[2:3], 1.0
	v_rcp_f64_e32 v[10:11], v[4:5]
	s_nop 0
	v_fma_f64 v[24:25], -v[4:5], v[10:11], 1.0
	v_fmac_f64_e32 v[10:11], v[10:11], v[24:25]
	v_fma_f64 v[24:25], -v[4:5], v[10:11], 1.0
	v_fmac_f64_e32 v[10:11], v[10:11], v[24:25]
	v_div_scale_f64 v[24:25], vcc, 1.0, v[2:3], 1.0
	v_mul_f64 v[26:27], v[24:25], v[10:11]
	v_fma_f64 v[4:5], -v[4:5], v[26:27], v[24:25]
	s_nop 1
	v_div_fmas_f64 v[4:5], v[4:5], v[10:11], v[26:27]
	v_div_fixup_f64 v[2:3], v[4:5], v[2:3], 1.0
	s_waitcnt lgkmcnt(0)
	v_fma_f64 v[4:5], v[12:13], v[8:9], v[6:7]
	v_mul_f64 v[10:11], v[2:3], v[4:5]
	v_fma_f64 v[4:5], -v[12:13], v[6:7], v[8:9]
	v_mul_f64 v[12:13], v[4:5], v[2:3]
.LBB7_106:                              ;   in Loop: Header=BB7_101 Depth=2
	s_or_b64 exec, exec, s[58:59]
	ds_write_b128 v14, v[10:13]
.LBB7_107:                              ;   in Loop: Header=BB7_101 Depth=2
	s_or_b64 exec, exec, s[56:57]
	v_cmp_lt_u32_e32 vcc, s48, v0
	s_waitcnt lgkmcnt(0)
	s_barrier
	s_and_saveexec_b64 s[56:57], vcc
	s_cbranch_execz .LBB7_100
; %bb.108:                              ;   in Loop: Header=BB7_101 Depth=2
	s_add_i32 s58, s46, s48
	s_cmp_lt_i32 s58, s13
	s_cselect_b64 s[58:59], -1, 0
	s_and_b64 s[58:59], s[50:51], s[58:59]
	s_and_b64 exec, exec, s[58:59]
	s_cbranch_execz .LBB7_100
; %bb.109:                              ;   in Loop: Header=BB7_101 Depth=2
	s_lshl_b64 s[58:59], s[52:53], 3
	s_and_b32 s58, s58, -16
	v_lshl_add_u64 v[2:3], v[22:23], 0, s[58:59]
	global_load_dwordx4 v[2:5], v[2:3], off offset:-8
	v_mov_b32_e32 v6, s33
	ds_read_b128 v[6:9], v6
	ds_read_b128 v[10:13], v14
	s_waitcnt vmcnt(0) lgkmcnt(1)
	v_mul_f64 v[24:25], v[4:5], v[8:9]
	v_mul_f64 v[8:9], v[2:3], v[8:9]
	v_fma_f64 v[2:3], v[2:3], v[6:7], -v[24:25]
	v_fmac_f64_e32 v[8:9], v[4:5], v[6:7]
	s_waitcnt lgkmcnt(0)
	v_add_f64 v[2:3], v[10:11], -v[2:3]
	v_add_f64 v[4:5], v[12:13], -v[8:9]
	ds_write_b128 v14, v[2:5]
	s_branch .LBB7_100
.LBB7_110:                              ;   in Loop: Header=BB7_97 Depth=1
	s_add_u32 s2, s46, 0x200
	s_addc_u32 s3, s47, 0
	s_cmp_ge_i32 s2, s13
	s_cselect_b64 s[48:49], -1, 0
	s_and_b64 vcc, exec, s[48:49]
	s_waitcnt lgkmcnt(0)
	s_barrier
	s_cbranch_vccnz .LBB7_129
; %bb.111:                              ;   in Loop: Header=BB7_97 Depth=1
	v_ashrrev_i32_e32 v19, 31, v18
	v_lshl_add_u64 v[2:3], s[40:41], 0, v[18:19]
	v_lshlrev_b64 v[4:5], 4, v[2:3]
	s_mov_b32 s33, s2
	v_lshl_add_u64 v[2:3], s[16:17], 0, v[4:5]
	v_lshl_add_u64 v[4:5], s[22:23], 0, v[4:5]
	s_mov_b64 s[50:51], 0
	v_mov_b64_e32 v[6:7], v[0:1]
                                        ; implicit-def: $sgpr52_sgpr53
	s_branch .LBB7_114
.LBB7_112:                              ;   in Loop: Header=BB7_114 Depth=2
	v_mad_u64_u32 v[12:13], s[56:57], s6, v19, 0
	v_mov_b32_e32 v20, v13
	v_mad_u64_u32 v[20:21], s[56:57], s7, v19, v[20:21]
	v_mov_b32_e32 v13, v20
	v_lshl_add_u64 v[24:25], v[12:13], 4, s[4:5]
	global_load_dwordx4 v[20:23], v[24:25], off
	s_addk_i32 s33, 0x200
	s_cmp_ge_i32 s33, s13
	s_cselect_b64 s[56:57], -1, 0
	s_andn2_b64 s[52:53], s[52:53], exec
	s_and_b64 s[56:57], s[56:57], exec
	v_lshl_add_u64 v[2:3], v[2:3], 0, s[38:39]
	v_lshl_add_u64 v[4:5], v[4:5], 0, s[38:39]
	s_or_b64 s[52:53], s[52:53], s[56:57]
	s_waitcnt vmcnt(0)
	v_add_f64 v[10:11], v[20:21], -v[10:11]
	v_add_f64 v[12:13], v[22:23], -v[8:9]
	global_store_dwordx4 v[24:25], v[10:13], off
.LBB7_113:                              ;   in Loop: Header=BB7_114 Depth=2
	s_or_b64 exec, exec, s[54:55]
	s_and_b64 s[54:55], exec, s[52:53]
	s_or_b64 s[50:51], s[54:55], s[50:51]
	s_andn2_b64 exec, exec, s[50:51]
	s_cbranch_execz .LBB7_128
.LBB7_114:                              ;   Parent Loop BB7_97 Depth=1
                                        ; =>  This Loop Header: Depth=2
                                        ;       Child Loop BB7_116 Depth 3
	v_add_u32_e32 v19, s33, v0
	v_cmp_gt_i32_e32 vcc, s13, v19
	s_or_b64 s[52:53], s[52:53], exec
	s_and_saveexec_b64 s[54:55], vcc
	s_cbranch_execz .LBB7_113
; %bb.115:                              ;   in Loop: Header=BB7_114 Depth=2
	v_lshl_add_u64 v[12:13], v[6:7], 0, s[34:35]
	v_lshl_add_u64 v[6:7], v[6:7], 0, s[30:31]
	v_mov_b64_e32 v[8:9], 0
	s_mov_b64 s[56:57], 0
	s_mov_b32 s47, 0
	s_mov_b64 s[58:59], s[26:27]
	s_mov_b64 s[62:63], s[24:25]
	v_mov_b64_e32 v[20:21], v[4:5]
	s_mov_b64 s[60:61], s[20:21]
	s_mov_b64 s[64:65], s[18:19]
	v_mov_b64_e32 v[22:23], v[2:3]
	v_mov_b64_e32 v[10:11], 0
.LBB7_116:                              ;   Parent Loop BB7_97 Depth=1
                                        ;     Parent Loop BB7_114 Depth=2
                                        ; =>    This Inner Loop Header: Depth=3
	v_cmp_ne_u32_e32 vcc, s56, v6
	s_xor_b64 s[66:67], s[8:9], -1
	s_add_u32 s70, s46, s56
	s_or_b64 s[68:69], s[66:67], vcc
	s_and_saveexec_b64 s[72:73], s[68:69]
	s_xor_b64 s[68:69], exec, s[72:73]
	s_cbranch_execz .LBB7_119
; %bb.117:                              ;   in Loop: Header=BB7_116 Depth=3
	s_cmp_ge_i32 s70, s13
	s_cbranch_scc1 .LBB7_119
; %bb.118:                              ;   in Loop: Header=BB7_116 Depth=3
	s_lshl_b64 s[72:73], s[58:59], 3
	s_and_b32 s72, s72, -16
	v_lshl_add_u64 v[24:25], v[20:21], 0, s[72:73]
	global_load_dwordx4 v[24:27], v[24:25], off offset:-8
	v_mov_b32_e32 v13, s47
	ds_read_b128 v[28:31], v13
	s_waitcnt vmcnt(0) lgkmcnt(0)
	v_mul_f64 v[32:33], v[26:27], v[30:31]
	v_mul_f64 v[30:31], v[24:25], v[30:31]
	v_fma_f64 v[24:25], v[24:25], v[28:29], -v[32:33]
	v_fmac_f64_e32 v[30:31], v[26:27], v[28:29]
	v_add_f64 v[10:11], v[10:11], v[24:25]
	v_add_f64 v[8:9], v[8:9], v[30:31]
.LBB7_119:                              ;   in Loop: Header=BB7_116 Depth=3
	s_andn2_saveexec_b64 s[68:69], s[68:69]
	s_cbranch_execz .LBB7_121
; %bb.120:                              ;   in Loop: Header=BB7_116 Depth=3
	v_mov_b32_e32 v13, s47
	ds_read_b128 v[24:27], v13
	s_waitcnt lgkmcnt(0)
	v_add_f64 v[10:11], v[10:11], v[24:25]
	v_add_f64 v[8:9], v[8:9], v[26:27]
.LBB7_121:                              ;   in Loop: Header=BB7_116 Depth=3
	s_or_b64 exec, exec, s[68:69]
	v_cmp_ne_u32_e32 vcc, s56, v12
	s_or_b64 s[66:67], s[66:67], vcc
	s_and_saveexec_b64 s[68:69], s[66:67]
	s_xor_b64 s[66:67], exec, s[68:69]
	s_cbranch_execz .LBB7_124
; %bb.122:                              ;   in Loop: Header=BB7_116 Depth=3
	s_add_i32 s70, s70, 1
	s_cmp_ge_i32 s70, s13
	s_cbranch_scc1 .LBB7_124
; %bb.123:                              ;   in Loop: Header=BB7_116 Depth=3
	s_lshl_b64 s[68:69], s[60:61], 3
	s_and_b32 s68, s68, -16
	v_lshl_add_u64 v[24:25], v[22:23], 0, s[68:69]
	global_load_dwordx4 v[24:27], v[24:25], off
	v_mov_b32_e32 v13, s47
	ds_read_b128 v[28:31], v13 offset:16
	s_waitcnt vmcnt(0) lgkmcnt(0)
	v_mul_f64 v[32:33], v[26:27], v[30:31]
	v_mul_f64 v[30:31], v[24:25], v[30:31]
	v_fma_f64 v[24:25], v[24:25], v[28:29], -v[32:33]
	v_fmac_f64_e32 v[30:31], v[26:27], v[28:29]
	v_add_f64 v[10:11], v[10:11], v[24:25]
	v_add_f64 v[8:9], v[8:9], v[30:31]
.LBB7_124:                              ;   in Loop: Header=BB7_116 Depth=3
	s_andn2_saveexec_b64 s[66:67], s[66:67]
	s_cbranch_execz .LBB7_126
; %bb.125:                              ;   in Loop: Header=BB7_116 Depth=3
	v_mov_b32_e32 v13, s47
	ds_read_b128 v[24:27], v13 offset:16
	s_waitcnt lgkmcnt(0)
	v_add_f64 v[10:11], v[10:11], v[24:25]
	v_add_f64 v[8:9], v[8:9], v[26:27]
.LBB7_126:                              ;   in Loop: Header=BB7_116 Depth=3
	s_or_b64 exec, exec, s[66:67]
	s_add_u32 s56, s56, 2
	s_addc_u32 s57, s57, 0
	s_add_i32 s47, s47, 32
	s_add_u32 s66, s64, -8
	s_addc_u32 s67, s65, -1
	s_add_u32 s60, s60, s64
	s_addc_u32 s61, s61, s65
	s_add_u32 s64, s62, -8
	s_addc_u32 s65, s63, -1
	s_add_u32 s58, s58, s62
	s_addc_u32 s59, s59, s63
	v_lshl_add_u64 v[22:23], v[22:23], 0, s[36:37]
	s_cmpk_eq_i32 s56, 0x200
	v_lshl_add_u64 v[20:21], v[20:21], 0, s[36:37]
	s_cbranch_scc1 .LBB7_112
; %bb.127:                              ;   in Loop: Header=BB7_116 Depth=3
	s_mov_b64 s[62:63], s[64:65]
	s_mov_b64 s[64:65], s[66:67]
	s_branch .LBB7_116
.LBB7_128:                              ;   in Loop: Header=BB7_97 Depth=1
	s_or_b64 exec, exec, s[50:51]
.LBB7_129:                              ;   in Loop: Header=BB7_97 Depth=1
	s_and_saveexec_b64 s[46:47], s[0:1]
	s_cbranch_execz .LBB7_96
; %bb.130:                              ;   in Loop: Header=BB7_97 Depth=1
	v_mad_u64_u32 v[6:7], s[0:1], s6, v15, 0
	ds_read2_b64 v[2:5], v14 offset1:1
	v_mov_b32_e32 v8, v7
	v_mad_u64_u32 v[8:9], s[0:1], s7, v15, v[8:9]
	v_mov_b32_e32 v7, v8
	v_lshl_add_u64 v[6:7], v[6:7], 4, s[4:5]
	s_waitcnt lgkmcnt(0)
	global_store_dwordx4 v[6:7], v[2:5], off
	s_branch .LBB7_96
.LBB7_131:
	s_mov_b64 s[0:1], 0
.LBB7_132:
	s_andn2_b64 vcc, exec, s[0:1]
	s_cbranch_vccnz .LBB7_166
; %bb.133:
	s_andn2_b64 vcc, exec, s[14:15]
	s_cbranch_vccnz .LBB7_166
; %bb.134:
	v_mov_b32_e32 v1, 0x2000
	v_mov_b32_e32 v15, 0
	s_movk_i32 s18, 0xfe00
	s_add_i32 s37, s13, 0xfffffe00
	v_lshl_or_b32 v28, v0, 4, v1
	s_mov_b32 s33, 0
	s_mov_b32 s36, s13
	v_mov_b32_e32 v1, v15
	s_mov_b64 s[12:13], 0xfffffdff
	s_mov_b64 s[14:15], 0xfffffe00
	s_xor_b64 s[16:17], s[8:9], -1
	s_mov_b32 s19, -1
	s_branch .LBB7_136
.LBB7_135:                              ;   in Loop: Header=BB7_136 Depth=1
	s_or_b64 exec, exec, s[20:21]
	s_add_u32 s36, s36, 0xfffffe00
	s_addc_u32 s33, s33, -1
	s_and_b64 vcc, exec, s[2:3]
	s_mov_b32 s37, s38
	s_barrier
	s_cbranch_vccnz .LBB7_166
.LBB7_136:                              ; =>This Loop Header: Depth=1
                                        ;     Child Loop BB7_140 Depth 2
                                        ;     Child Loop BB7_152 Depth 2
                                        ;       Child Loop BB7_155 Depth 3
	v_add_u32_e32 v16, s37, v0
	v_cmp_gt_i32_e32 vcc, 0, v16
	v_cmp_lt_i32_e64 s[0:1], -1, v16
	v_mov_b32_e32 v17, v15
	s_and_saveexec_b64 s[2:3], s[0:1]
	s_cbranch_execz .LBB7_138
; %bb.137:                              ;   in Loop: Header=BB7_136 Depth=1
	v_mad_u64_u32 v[2:3], s[20:21], s6, v16, 0
	v_mov_b32_e32 v4, v3
	v_mad_u64_u32 v[4:5], s[20:21], s7, v16, v[4:5]
	v_mov_b32_e32 v3, v4
	v_lshl_add_u64 v[2:3], v[2:3], 4, s[4:5]
	global_load_dwordx4 v[2:5], v[2:3], off
	s_waitcnt vmcnt(0)
	ds_write2_b64 v28, v[2:3], v[4:5] offset1:1
.LBB7_138:                              ;   in Loop: Header=BB7_136 Depth=1
	s_or_b64 exec, exec, s[2:3]
	v_add_u32_e32 v4, 1, v16
	v_ashrrev_i32_e32 v3, 31, v16
	v_mov_b32_e32 v2, v16
	v_mad_u64_u32 v[4:5], s[2:3], v16, v4, 0
	v_lshl_add_u64 v[18:19], v[2:3], 4, s[10:11]
	v_lshlrev_b64 v[2:3], 3, v[4:5]
	v_lshl_add_u64 v[6:7], v[16:17], 4, s[10:11]
	v_and_b32_e32 v2, -16, v2
	s_or_b64 s[2:3], s[8:9], vcc
	v_lshl_add_u64 v[20:21], v[6:7], 0, v[2:3]
	s_movk_i32 s24, 0x1ff
	s_movk_i32 s25, 0x3ff0
	s_xor_b64 s[20:21], s[2:3], -1
	s_waitcnt lgkmcnt(0)
	s_barrier
	s_branch .LBB7_140
.LBB7_139:                              ;   in Loop: Header=BB7_140 Depth=2
	s_or_b64 exec, exec, s[2:3]
	s_add_i32 s24, s24, -1
	s_add_i32 s25, s25, -16
	s_cmp_eq_u32 s24, -1
	s_cbranch_scc1 .LBB7_148
.LBB7_140:                              ;   Parent Loop BB7_136 Depth=1
                                        ; =>  This Inner Loop Header: Depth=2
	v_cmp_eq_u32_e32 vcc, s24, v0
	s_and_b64 s[22:23], vcc, s[20:21]
	s_and_saveexec_b64 s[2:3], s[22:23]
	s_cbranch_execz .LBB7_146
; %bb.141:                              ;   in Loop: Header=BB7_140 Depth=2
	global_load_dwordx4 v[2:5], v[20:21], off
	ds_read_b128 v[6:9], v28
                                        ; implicit-def: $vgpr10_vgpr11
	s_waitcnt vmcnt(0)
	v_cmp_ngt_f64_e64 s[22:23], |v[2:3]|, |v[4:5]|
	s_and_saveexec_b64 s[26:27], s[22:23]
	s_xor_b64 s[22:23], exec, s[26:27]
	s_cbranch_execz .LBB7_143
; %bb.142:                              ;   in Loop: Header=BB7_140 Depth=2
	v_div_scale_f64 v[10:11], s[26:27], v[4:5], v[4:5], v[2:3]
	v_rcp_f64_e32 v[12:13], v[10:11]
	v_div_scale_f64 v[22:23], vcc, v[2:3], v[4:5], v[2:3]
	v_fma_f64 v[24:25], -v[10:11], v[12:13], 1.0
	v_fmac_f64_e32 v[12:13], v[12:13], v[24:25]
	v_fma_f64 v[24:25], -v[10:11], v[12:13], 1.0
	v_fmac_f64_e32 v[12:13], v[12:13], v[24:25]
	v_mul_f64 v[24:25], v[22:23], v[12:13]
	v_fma_f64 v[10:11], -v[10:11], v[24:25], v[22:23]
	v_div_fmas_f64 v[10:11], v[10:11], v[12:13], v[24:25]
	v_div_fixup_f64 v[12:13], v[10:11], v[4:5], v[2:3]
	v_fmac_f64_e32 v[4:5], v[2:3], v[12:13]
	v_div_scale_f64 v[2:3], s[26:27], v[4:5], v[4:5], 1.0
	v_rcp_f64_e32 v[10:11], v[2:3]
	s_nop 0
	v_fma_f64 v[22:23], -v[2:3], v[10:11], 1.0
	v_fmac_f64_e32 v[10:11], v[10:11], v[22:23]
	v_fma_f64 v[22:23], -v[2:3], v[10:11], 1.0
	v_fmac_f64_e32 v[10:11], v[10:11], v[22:23]
	v_div_scale_f64 v[22:23], vcc, 1.0, v[4:5], 1.0
	v_mul_f64 v[24:25], v[22:23], v[10:11]
	v_fma_f64 v[2:3], -v[2:3], v[24:25], v[22:23]
	s_nop 1
	v_div_fmas_f64 v[2:3], v[2:3], v[10:11], v[24:25]
	v_div_fixup_f64 v[2:3], v[2:3], v[4:5], 1.0
	s_waitcnt lgkmcnt(0)
	v_fma_f64 v[4:5], v[12:13], v[6:7], v[8:9]
	v_mul_f64 v[10:11], v[4:5], v[2:3]
	v_fma_f64 v[4:5], v[12:13], v[8:9], -v[6:7]
	v_mul_f64 v[12:13], v[2:3], v[4:5]
                                        ; implicit-def: $vgpr2_vgpr3
                                        ; implicit-def: $vgpr8_vgpr9
.LBB7_143:                              ;   in Loop: Header=BB7_140 Depth=2
	s_andn2_saveexec_b64 s[22:23], s[22:23]
	s_cbranch_execz .LBB7_145
; %bb.144:                              ;   in Loop: Header=BB7_140 Depth=2
	v_div_scale_f64 v[10:11], s[26:27], v[2:3], v[2:3], v[4:5]
	v_rcp_f64_e32 v[12:13], v[10:11]
	v_div_scale_f64 v[22:23], vcc, v[4:5], v[2:3], v[4:5]
	v_fma_f64 v[24:25], -v[10:11], v[12:13], 1.0
	v_fmac_f64_e32 v[12:13], v[12:13], v[24:25]
	v_fma_f64 v[24:25], -v[10:11], v[12:13], 1.0
	v_fmac_f64_e32 v[12:13], v[12:13], v[24:25]
	v_mul_f64 v[24:25], v[22:23], v[12:13]
	v_fma_f64 v[10:11], -v[10:11], v[24:25], v[22:23]
	v_div_fmas_f64 v[10:11], v[10:11], v[12:13], v[24:25]
	v_div_fixup_f64 v[12:13], v[10:11], v[2:3], v[4:5]
	v_fmac_f64_e32 v[2:3], v[4:5], v[12:13]
	v_div_scale_f64 v[4:5], s[26:27], v[2:3], v[2:3], 1.0
	v_rcp_f64_e32 v[10:11], v[4:5]
	s_nop 0
	v_fma_f64 v[22:23], -v[4:5], v[10:11], 1.0
	v_fmac_f64_e32 v[10:11], v[10:11], v[22:23]
	v_fma_f64 v[22:23], -v[4:5], v[10:11], 1.0
	v_fmac_f64_e32 v[10:11], v[10:11], v[22:23]
	v_div_scale_f64 v[22:23], vcc, 1.0, v[2:3], 1.0
	v_mul_f64 v[24:25], v[22:23], v[10:11]
	v_fma_f64 v[4:5], -v[4:5], v[24:25], v[22:23]
	s_nop 1
	v_div_fmas_f64 v[4:5], v[4:5], v[10:11], v[24:25]
	v_div_fixup_f64 v[2:3], v[4:5], v[2:3], 1.0
	s_waitcnt lgkmcnt(0)
	v_fma_f64 v[4:5], v[12:13], v[8:9], v[6:7]
	v_mul_f64 v[10:11], v[2:3], v[4:5]
	v_fma_f64 v[4:5], -v[12:13], v[6:7], v[8:9]
	v_mul_f64 v[12:13], v[4:5], v[2:3]
.LBB7_145:                              ;   in Loop: Header=BB7_140 Depth=2
	s_or_b64 exec, exec, s[22:23]
	ds_write_b128 v28, v[10:13]
.LBB7_146:                              ;   in Loop: Header=BB7_140 Depth=2
	s_or_b64 exec, exec, s[2:3]
	s_add_i32 s23, s36, s24
	s_add_i32 s22, s23, 0xfffffe00
	v_or_b32_e32 v2, s22, v16
	v_cmp_gt_u32_e32 vcc, s24, v0
	v_cmp_lt_i32_e64 s[2:3], -1, v2
	s_and_b64 s[26:27], vcc, s[2:3]
	s_waitcnt lgkmcnt(0)
	s_barrier
	s_and_saveexec_b64 s[2:3], s[26:27]
	s_cbranch_execz .LBB7_139
; %bb.147:                              ;   in Loop: Header=BB7_140 Depth=2
	s_add_i32 s26, s23, 0xfffffe01
	s_mul_hi_u32 s23, s26, s22
	s_mul_i32 s22, s26, s22
	s_lshl_b64 s[22:23], s[22:23], 3
	s_and_b32 s22, s22, -16
	v_lshl_add_u64 v[2:3], v[18:19], 0, s[22:23]
	global_load_dwordx4 v[2:5], v[2:3], off
	v_mov_b32_e32 v6, s25
	ds_read_b128 v[6:9], v6
	ds_read_b128 v[10:13], v28
	s_waitcnt vmcnt(0) lgkmcnt(1)
	v_mul_f64 v[22:23], v[4:5], v[8:9]
	v_mul_f64 v[8:9], v[2:3], v[8:9]
	v_fma_f64 v[2:3], v[2:3], v[6:7], -v[22:23]
	v_fmac_f64_e32 v[8:9], v[4:5], v[6:7]
	s_waitcnt lgkmcnt(0)
	v_add_f64 v[2:3], v[10:11], -v[2:3]
	v_add_f64 v[4:5], v[12:13], -v[8:9]
	ds_write_b128 v28, v[2:5]
	s_branch .LBB7_139
.LBB7_148:                              ;   in Loop: Header=BB7_136 Depth=1
	s_add_i32 s38, s37, 0xfffffe00
	s_cmp_lt_i32 s37, 1
	s_cselect_b64 s[2:3], -1, 0
	s_and_b64 vcc, exec, s[2:3]
	s_waitcnt lgkmcnt(0)
	s_barrier
	s_cbranch_vccnz .LBB7_164
; %bb.149:                              ;   in Loop: Header=BB7_136 Depth=1
	s_mov_b64 s[20:21], 0
	v_mov_b64_e32 v[10:11], v[0:1]
	s_mov_b32 s39, s38
                                        ; implicit-def: $sgpr22_sgpr23
	s_branch .LBB7_152
.LBB7_150:                              ;   in Loop: Header=BB7_152 Depth=2
	v_mad_u64_u32 v[2:3], s[26:27], s6, v14, 0
	v_mov_b32_e32 v4, v3
	v_mad_u64_u32 v[4:5], s[26:27], s7, v14, v[4:5]
	v_mov_b32_e32 v3, v4
	v_lshl_add_u64 v[6:7], v[2:3], 4, s[4:5]
	global_load_dwordx4 v[2:5], v[6:7], off
	s_add_i32 s28, s39, 0xfffffe00
	s_cmp_lt_i32 s39, 1
	s_cselect_b64 s[26:27], -1, 0
	s_andn2_b64 s[22:23], s[22:23], exec
	s_and_b64 s[26:27], s[26:27], exec
	v_lshl_add_u64 v[10:11], v[10:11], 0, s[18:19]
	s_or_b64 s[22:23], s[22:23], s[26:27]
	s_mov_b32 s39, s28
	s_waitcnt vmcnt(0)
	v_add_f64 v[2:3], v[2:3], -v[18:19]
	v_add_f64 v[4:5], v[4:5], -v[12:13]
	global_store_dwordx4 v[6:7], v[2:5], off
.LBB7_151:                              ;   in Loop: Header=BB7_152 Depth=2
	s_or_b64 exec, exec, s[24:25]
	s_and_b64 s[24:25], exec, s[22:23]
	s_or_b64 s[20:21], s[24:25], s[20:21]
	s_andn2_b64 exec, exec, s[20:21]
	s_cbranch_execz .LBB7_163
.LBB7_152:                              ;   Parent Loop BB7_136 Depth=1
                                        ; =>  This Loop Header: Depth=2
                                        ;       Child Loop BB7_155 Depth 3
	v_add_u32_e32 v14, s39, v0
	v_cmp_lt_i32_e32 vcc, -1, v14
	s_or_b64 s[22:23], s[22:23], exec
	s_and_saveexec_b64 s[24:25], vcc
	s_cbranch_execz .LBB7_151
; %bb.153:                              ;   in Loop: Header=BB7_152 Depth=2
	v_lshl_add_u64 v[20:21], v[14:15], 4, s[10:11]
	v_lshl_add_u64 v[22:23], v[10:11], 0, s[12:13]
	;; [unrolled: 1-line block ×3, first 2 shown]
	v_mov_b64_e32 v[12:13], 0
	s_movk_i32 s40, 0x2000
	s_mov_b64 s[26:27], 0
	v_mov_b64_e32 v[18:19], 0
	s_branch .LBB7_155
.LBB7_154:                              ;   in Loop: Header=BB7_155 Depth=3
	s_or_b64 exec, exec, s[28:29]
	s_add_i32 s40, s40, 32
	s_add_u32 s26, s26, 2
	s_waitcnt lgkmcnt(0)
	v_add_f64 v[4:5], v[12:13], v[4:5]
	v_add_f64 v[2:3], v[18:19], v[2:3]
	s_addc_u32 s27, s27, 0
	v_add_f64 v[12:13], v[4:5], v[8:9]
	s_cmpk_eq_i32 s26, 0x200
	v_add_f64 v[18:19], v[2:3], v[6:7]
	s_cbranch_scc1 .LBB7_150
.LBB7_155:                              ;   Parent Loop BB7_136 Depth=1
                                        ;     Parent Loop BB7_152 Depth=2
                                        ; =>    This Inner Loop Header: Depth=3
	v_cmp_ne_u32_e32 vcc, s26, v24
	s_or_b64 s[34:35], s[16:17], vcc
                                        ; implicit-def: $vgpr4_vgpr5
                                        ; implicit-def: $sgpr28_sgpr29
                                        ; implicit-def: $sgpr30_sgpr31
	s_and_saveexec_b64 s[42:43], s[34:35]
	s_xor_b64 s[34:35], exec, s[42:43]
	s_cbranch_execz .LBB7_157
; %bb.156:                              ;   in Loop: Header=BB7_155 Depth=3
	s_add_u32 s28, s36, s26
	s_addc_u32 s29, s33, s27
	s_add_u32 s30, s28, 0xfffffe01
	s_addc_u32 s31, s29, 0
	;; [unrolled: 2-line block ×3, first 2 shown]
	s_mul_i32 s42, s30, s42
	s_mul_hi_u32 s43, s30, s41
	s_add_i32 s43, s43, s42
	s_mul_i32 s42, s30, s41
	s_lshl_b64 s[42:43], s[42:43], 3
	s_and_b32 s42, s42, -16
	v_lshl_add_u64 v[2:3], v[20:21], 0, s[42:43]
	global_load_dwordx4 v[6:9], v[2:3], off
	v_mov_b32_e32 v2, s40
	ds_read_b128 v[30:33], v2
	s_waitcnt vmcnt(0) lgkmcnt(0)
	v_mul_f64 v[2:3], v[8:9], v[32:33]
	v_mul_f64 v[4:5], v[6:7], v[32:33]
	v_fma_f64 v[2:3], v[6:7], v[30:31], -v[2:3]
	v_fmac_f64_e32 v[4:5], v[8:9], v[30:31]
.LBB7_157:                              ;   in Loop: Header=BB7_155 Depth=3
	s_or_saveexec_b64 s[34:35], s[34:35]
	v_mov_b64_e32 v[6:7], s[30:31]
	v_mov_b64_e32 v[26:27], s[28:29]
	s_xor_b64 exec, exec, s[34:35]
	s_cbranch_execz .LBB7_159
; %bb.158:                              ;   in Loop: Header=BB7_155 Depth=3
	v_mov_b32_e32 v2, s40
	ds_read_b128 v[2:5], v2
	s_add_u32 s28, s36, s26
	s_addc_u32 s29, s33, s27
	s_add_u32 s30, s28, 0xfffffe01
	s_addc_u32 s31, s29, 0
	v_mov_b64_e32 v[6:7], s[30:31]
	v_mov_b64_e32 v[26:27], s[28:29]
.LBB7_159:                              ;   in Loop: Header=BB7_155 Depth=3
	s_or_b64 exec, exec, s[34:35]
	v_cmp_ne_u32_e32 vcc, s26, v22
	s_or_b64 s[28:29], s[16:17], vcc
                                        ; implicit-def: $vgpr8_vgpr9
	s_and_saveexec_b64 s[30:31], s[28:29]
	s_xor_b64 s[28:29], exec, s[30:31]
	s_cbranch_execz .LBB7_161
; %bb.160:                              ;   in Loop: Header=BB7_155 Depth=3
	v_add_u32_e32 v7, 0xfffffe02, v26
	v_mad_u64_u32 v[6:7], s[30:31], v7, v6, 0
	v_lshlrev_b64 v[6:7], 3, v[6:7]
	v_and_b32_e32 v6, -16, v6
	v_lshl_add_u64 v[6:7], v[20:21], 0, v[6:7]
	global_load_dwordx4 v[30:33], v[6:7], off
	v_mov_b32_e32 v6, s40
	ds_read_b128 v[34:37], v6 offset:16
	s_waitcnt vmcnt(0) lgkmcnt(0)
	v_mul_f64 v[6:7], v[32:33], v[36:37]
	v_mul_f64 v[8:9], v[30:31], v[36:37]
	v_fma_f64 v[6:7], v[30:31], v[34:35], -v[6:7]
	v_fmac_f64_e32 v[8:9], v[32:33], v[34:35]
.LBB7_161:                              ;   in Loop: Header=BB7_155 Depth=3
	s_andn2_saveexec_b64 s[28:29], s[28:29]
	s_cbranch_execz .LBB7_154
; %bb.162:                              ;   in Loop: Header=BB7_155 Depth=3
	v_mov_b32_e32 v6, s40
	ds_read_b128 v[6:9], v6 offset:16
	s_branch .LBB7_154
.LBB7_163:                              ;   in Loop: Header=BB7_136 Depth=1
	s_or_b64 exec, exec, s[20:21]
.LBB7_164:                              ;   in Loop: Header=BB7_136 Depth=1
	s_and_saveexec_b64 s[20:21], s[0:1]
	s_cbranch_execz .LBB7_135
; %bb.165:                              ;   in Loop: Header=BB7_136 Depth=1
	v_mad_u64_u32 v[6:7], s[0:1], s6, v16, 0
	ds_read2_b64 v[2:5], v28 offset1:1
	v_mov_b32_e32 v8, v7
	v_mad_u64_u32 v[8:9], s[0:1], s7, v16, v[8:9]
	v_mov_b32_e32 v7, v8
	v_lshl_add_u64 v[6:7], v[6:7], 4, s[4:5]
	s_waitcnt lgkmcnt(0)
	global_store_dwordx4 v[6:7], v[2:5], off
	s_branch .LBB7_135
.LBB7_166:
	s_endpgm
	.section	.rodata,"a",@progbits
	.p2align	6, 0x0
	.amdhsa_kernel _ZL19rocblas_tpsv_kernelILb0ELi512EPK19rocblas_complex_numIdEPS1_Ev18rocblas_operation_bbiT1_llT2_lll
		.amdhsa_group_segment_fixed_size 16384
		.amdhsa_private_segment_fixed_size 0
		.amdhsa_kernarg_size 72
		.amdhsa_user_sgpr_count 2
		.amdhsa_user_sgpr_dispatch_ptr 0
		.amdhsa_user_sgpr_queue_ptr 0
		.amdhsa_user_sgpr_kernarg_segment_ptr 1
		.amdhsa_user_sgpr_dispatch_id 0
		.amdhsa_user_sgpr_kernarg_preload_length 0
		.amdhsa_user_sgpr_kernarg_preload_offset 0
		.amdhsa_user_sgpr_private_segment_size 0
		.amdhsa_uses_dynamic_stack 0
		.amdhsa_enable_private_segment 0
		.amdhsa_system_sgpr_workgroup_id_x 1
		.amdhsa_system_sgpr_workgroup_id_y 0
		.amdhsa_system_sgpr_workgroup_id_z 0
		.amdhsa_system_sgpr_workgroup_info 0
		.amdhsa_system_vgpr_workitem_id 0
		.amdhsa_next_free_vgpr 44
		.amdhsa_next_free_sgpr 74
		.amdhsa_accum_offset 44
		.amdhsa_reserve_vcc 1
		.amdhsa_float_round_mode_32 0
		.amdhsa_float_round_mode_16_64 0
		.amdhsa_float_denorm_mode_32 3
		.amdhsa_float_denorm_mode_16_64 3
		.amdhsa_dx10_clamp 1
		.amdhsa_ieee_mode 1
		.amdhsa_fp16_overflow 0
		.amdhsa_tg_split 0
		.amdhsa_exception_fp_ieee_invalid_op 0
		.amdhsa_exception_fp_denorm_src 0
		.amdhsa_exception_fp_ieee_div_zero 0
		.amdhsa_exception_fp_ieee_overflow 0
		.amdhsa_exception_fp_ieee_underflow 0
		.amdhsa_exception_fp_ieee_inexact 0
		.amdhsa_exception_int_div_zero 0
	.end_amdhsa_kernel
	.section	.text._ZL19rocblas_tpsv_kernelILb0ELi512EPK19rocblas_complex_numIdEPS1_Ev18rocblas_operation_bbiT1_llT2_lll,"axG",@progbits,_ZL19rocblas_tpsv_kernelILb0ELi512EPK19rocblas_complex_numIdEPS1_Ev18rocblas_operation_bbiT1_llT2_lll,comdat
.Lfunc_end7:
	.size	_ZL19rocblas_tpsv_kernelILb0ELi512EPK19rocblas_complex_numIdEPS1_Ev18rocblas_operation_bbiT1_llT2_lll, .Lfunc_end7-_ZL19rocblas_tpsv_kernelILb0ELi512EPK19rocblas_complex_numIdEPS1_Ev18rocblas_operation_bbiT1_llT2_lll
                                        ; -- End function
	.set _ZL19rocblas_tpsv_kernelILb0ELi512EPK19rocblas_complex_numIdEPS1_Ev18rocblas_operation_bbiT1_llT2_lll.num_vgpr, 44
	.set _ZL19rocblas_tpsv_kernelILb0ELi512EPK19rocblas_complex_numIdEPS1_Ev18rocblas_operation_bbiT1_llT2_lll.num_agpr, 0
	.set _ZL19rocblas_tpsv_kernelILb0ELi512EPK19rocblas_complex_numIdEPS1_Ev18rocblas_operation_bbiT1_llT2_lll.numbered_sgpr, 74
	.set _ZL19rocblas_tpsv_kernelILb0ELi512EPK19rocblas_complex_numIdEPS1_Ev18rocblas_operation_bbiT1_llT2_lll.num_named_barrier, 0
	.set _ZL19rocblas_tpsv_kernelILb0ELi512EPK19rocblas_complex_numIdEPS1_Ev18rocblas_operation_bbiT1_llT2_lll.private_seg_size, 0
	.set _ZL19rocblas_tpsv_kernelILb0ELi512EPK19rocblas_complex_numIdEPS1_Ev18rocblas_operation_bbiT1_llT2_lll.uses_vcc, 1
	.set _ZL19rocblas_tpsv_kernelILb0ELi512EPK19rocblas_complex_numIdEPS1_Ev18rocblas_operation_bbiT1_llT2_lll.uses_flat_scratch, 0
	.set _ZL19rocblas_tpsv_kernelILb0ELi512EPK19rocblas_complex_numIdEPS1_Ev18rocblas_operation_bbiT1_llT2_lll.has_dyn_sized_stack, 0
	.set _ZL19rocblas_tpsv_kernelILb0ELi512EPK19rocblas_complex_numIdEPS1_Ev18rocblas_operation_bbiT1_llT2_lll.has_recursion, 0
	.set _ZL19rocblas_tpsv_kernelILb0ELi512EPK19rocblas_complex_numIdEPS1_Ev18rocblas_operation_bbiT1_llT2_lll.has_indirect_call, 0
	.section	.AMDGPU.csdata,"",@progbits
; Kernel info:
; codeLenInByte = 7724
; TotalNumSgprs: 80
; NumVgprs: 44
; NumAgprs: 0
; TotalNumVgprs: 44
; ScratchSize: 0
; MemoryBound: 0
; FloatMode: 240
; IeeeMode: 1
; LDSByteSize: 16384 bytes/workgroup (compile time only)
; SGPRBlocks: 9
; VGPRBlocks: 5
; NumSGPRsForWavesPerEU: 80
; NumVGPRsForWavesPerEU: 44
; AccumOffset: 44
; Occupancy: 8
; WaveLimiterHint : 0
; COMPUTE_PGM_RSRC2:SCRATCH_EN: 0
; COMPUTE_PGM_RSRC2:USER_SGPR: 2
; COMPUTE_PGM_RSRC2:TRAP_HANDLER: 0
; COMPUTE_PGM_RSRC2:TGID_X_EN: 1
; COMPUTE_PGM_RSRC2:TGID_Y_EN: 0
; COMPUTE_PGM_RSRC2:TGID_Z_EN: 0
; COMPUTE_PGM_RSRC2:TIDIG_COMP_CNT: 0
; COMPUTE_PGM_RSRC3_GFX90A:ACCUM_OFFSET: 10
; COMPUTE_PGM_RSRC3_GFX90A:TG_SPLIT: 0
	.section	.text._ZL19rocblas_tpsv_kernelILb1ELi512EPKPKfPKPfEv18rocblas_operation_bbiT1_llT2_lll,"axG",@progbits,_ZL19rocblas_tpsv_kernelILb1ELi512EPKPKfPKPfEv18rocblas_operation_bbiT1_llT2_lll,comdat
	.globl	_ZL19rocblas_tpsv_kernelILb1ELi512EPKPKfPKPfEv18rocblas_operation_bbiT1_llT2_lll ; -- Begin function _ZL19rocblas_tpsv_kernelILb1ELi512EPKPKfPKPfEv18rocblas_operation_bbiT1_llT2_lll
	.p2align	8
	.type	_ZL19rocblas_tpsv_kernelILb1ELi512EPKPKfPKPfEv18rocblas_operation_bbiT1_llT2_lll,@function
_ZL19rocblas_tpsv_kernelILb1ELi512EPKPKfPKPfEv18rocblas_operation_bbiT1_llT2_lll: ; @_ZL19rocblas_tpsv_kernelILb1ELi512EPKPKfPKPfEv18rocblas_operation_bbiT1_llT2_lll
; %bb.0:
	s_load_dwordx2 s[22:23], s[0:1], 0x0
	s_load_dwordx2 s[12:13], s[0:1], 0x4
	s_load_dwordx4 s[16:19], s[0:1], 0x10
	s_load_dwordx2 s[14:15], s[0:1], 0x28
	s_mov_b32 s3, 0
	s_waitcnt lgkmcnt(0)
	s_bitcmp1_b32 s23, 0
	s_cselect_b64 s[4:5], -1, 0
	s_xor_b64 s[20:21], s[4:5], -1
	s_bitcmp1_b32 s12, 8
	s_cselect_b64 s[8:9], -1, 0
	s_lshl_b64 s[2:3], s[2:3], 3
	s_add_u32 s10, s16, s2
	s_addc_u32 s11, s17, s3
	s_load_dwordx2 s[16:17], s[10:11], 0x0
	s_load_dwordx4 s[4:7], s[0:1], 0x30
	s_lshl_b64 s[18:19], s[18:19], 2
	s_waitcnt lgkmcnt(0)
	s_add_u32 s10, s16, s18
	s_addc_u32 s11, s17, s19
	s_add_u32 s0, s14, s2
	s_addc_u32 s1, s15, s3
	s_load_dwordx2 s[0:1], s[0:1], 0x0
	s_lshl_b64 s[2:3], s[4:5], 2
	s_waitcnt lgkmcnt(0)
	s_add_u32 s4, s0, s2
	s_addc_u32 s5, s1, s3
	s_cmp_gt_i32 s13, 0
	s_cselect_b64 s[14:15], -1, 0
	s_cmpk_lg_i32 s22, 0x6f
	s_mov_b64 s[0:1], -1
	s_cbranch_scc0 .LBB8_93
; %bb.1:
	s_and_b64 vcc, exec, s[20:21]
	s_cbranch_vccz .LBB8_44
; %bb.2:
	s_andn2_b64 vcc, exec, s[14:15]
	s_cbranch_vccnz .LBB8_43
; %bb.3:
	v_lshlrev_b32_e32 v2, 2, v0
	v_or_b32_e32 v1, 0x1800, v2
	v_mov_b32_e32 v3, s19
	v_sub_co_u32_e32 v2, vcc, s18, v2
	s_mov_b64 s[0:1], 0x7fc
	s_nop 0
	v_subbrev_co_u32_e32 v3, vcc, 0, v3, vcc
	v_lshl_add_u64 v[2:3], s[16:17], 0, v[2:3]
	s_lshl_b32 s22, s13, 1
	v_lshl_add_u64 v[2:3], v[2:3], 0, s[0:1]
	s_ashr_i32 s1, s13, 31
	s_mov_b32 s0, s13
	s_add_i32 s36, s13, 0xfffffe00
	s_or_b32 s12, s22, 1
	s_lshl_b64 s[0:1], s[0:1], 2
	s_add_u32 s0, s18, s0
	s_addc_u32 s1, s19, s1
	s_add_u32 s0, s16, s0
	v_sub_u32_e32 v4, s13, v0
	s_addc_u32 s1, s17, s1
	v_add_u32_e32 v10, 0x201, v4
	v_add_u32_e32 v4, s13, v0
	s_add_u32 s2, s0, 0xfffff800
	v_add_u32_e32 v11, 0xfffffe00, v4
	v_add_u32_e32 v12, 0xfffffe01, v0
	s_addc_u32 s3, s1, -1
	v_add_u32_e32 v13, 0xfffffc00, v4
	s_ashr_i32 s33, s22, 31
	s_movk_i32 s40, 0x400
	s_xor_b64 s[22:23], s[8:9], -1
	s_movk_i32 s41, 0x401
	s_movk_i32 s42, 0x402
	;; [unrolled: 1-line block ×3, first 2 shown]
	s_mov_b64 s[24:25], 0x800
	s_mov_b64 s[26:27], 0x200
	s_branch .LBB8_5
.LBB8_4:                                ;   in Loop: Header=BB8_5 Depth=1
	s_or_b64 exec, exec, s[30:31]
	s_add_u32 s2, s2, 0xfffff800
	v_add_u32_e32 v10, 0x200, v10
	v_add_u32_e32 v11, 0xfffffe00, v11
	s_addc_u32 s3, s3, -1
	v_add_u32_e32 v13, 0xfffffe00, v13
	s_andn2_b64 vcc, exec, s[28:29]
	s_mov_b32 s36, s44
	s_waitcnt lgkmcnt(0)
	s_barrier
	s_cbranch_vccz .LBB8_43
.LBB8_5:                                ; =>This Loop Header: Depth=1
                                        ;     Child Loop BB8_9 Depth 2
                                        ;     Child Loop BB8_21 Depth 2
                                        ;       Child Loop BB8_24 Depth 3
	v_add_u32_e32 v14, s36, v0
	v_cmp_gt_i32_e32 vcc, 0, v14
	v_cmp_lt_i32_e64 s[0:1], -1, v14
	s_and_saveexec_b64 s[28:29], s[0:1]
	s_cbranch_execz .LBB8_7
; %bb.6:                                ;   in Loop: Header=BB8_5 Depth=1
	v_mad_u64_u32 v[4:5], s[30:31], s6, v14, 0
	v_mov_b32_e32 v6, v5
	v_mad_u64_u32 v[6:7], s[30:31], s7, v14, v[6:7]
	v_mov_b32_e32 v5, v6
	v_lshl_add_u64 v[4:5], v[4:5], 2, s[4:5]
	flat_load_dword v4, v[4:5]
	s_waitcnt vmcnt(0) lgkmcnt(0)
	ds_write_b32 v1, v4
.LBB8_7:                                ;   in Loop: Header=BB8_5 Depth=1
	s_or_b64 exec, exec, s[28:29]
	v_mad_u64_u32 v[4:5], s[28:29], v10, v11, 0
	v_ashrrev_i32_e32 v7, 31, v10
	v_mov_b32_e32 v6, v5
	v_mad_u64_u32 v[6:7], s[28:29], v7, v11, v[6:7]
	v_mov_b32_e32 v5, v6
	s_not_b32 s28, s36
	v_sub_u32_e32 v6, s12, v14
	v_max_i32_e32 v8, s28, v0
	v_ashrrev_i32_e32 v9, 31, v6
	v_mad_u64_u32 v[6:7], s[28:29], v6, v14, 0
	v_mov_b32_e32 v16, v7
	v_mad_u64_u32 v[16:17], s[28:29], v9, v14, v[16:17]
	v_mov_b32_e32 v7, v16
	v_lshlrev_b64 v[4:5], 1, v[4:5]
	v_lshlrev_b64 v[6:7], 1, v[6:7]
	v_and_b32_e32 v4, -4, v4
	v_and_b32_e32 v6, -4, v6
	s_or_b64 s[28:29], vcc, s[8:9]
	v_lshl_add_u64 v[4:5], v[2:3], 0, v[4:5]
	v_lshl_add_u64 v[6:7], s[10:11], 0, v[6:7]
	s_movk_i32 s37, 0x1ff
	s_movk_i32 s38, 0x1ff8
	s_xor_b64 s[28:29], s[28:29], -1
	s_xor_b64 s[30:31], vcc, -1
	v_mov_b32_e32 v9, v12
	s_waitcnt lgkmcnt(0)
	s_barrier
	s_branch .LBB8_9
.LBB8_8:                                ;   in Loop: Header=BB8_9 Depth=2
	s_or_b64 exec, exec, s[34:35]
	s_add_i32 s37, s37, -2
	s_add_i32 s38, s38, -8
	v_lshl_add_u64 v[4:5], v[4:5], 0, -8
	s_cmp_eq_u32 s39, 0
	v_add_u32_e32 v9, 2, v9
	s_cbranch_scc1 .LBB8_17
.LBB8_9:                                ;   Parent Loop BB8_5 Depth=1
                                        ; =>  This Inner Loop Header: Depth=2
	v_cmp_eq_u32_e32 vcc, 0, v9
	s_and_b64 s[44:45], vcc, s[28:29]
	s_and_saveexec_b64 s[34:35], s[44:45]
	s_cbranch_execz .LBB8_11
; %bb.10:                               ;   in Loop: Header=BB8_9 Depth=2
	flat_load_dword v15, v[6:7]
	ds_read_b32 v16, v1
	s_waitcnt vmcnt(0) lgkmcnt(0)
	v_div_scale_f32 v17, s[44:45], v15, v15, v16
	v_rcp_f32_e32 v18, v17
	v_div_scale_f32 v19, vcc, v16, v15, v16
	v_fma_f32 v20, -v17, v18, 1.0
	v_fmac_f32_e32 v18, v20, v18
	v_mul_f32_e32 v20, v19, v18
	v_fma_f32 v21, -v17, v20, v19
	v_fmac_f32_e32 v20, v21, v18
	v_fma_f32 v17, -v17, v20, v19
	v_div_fmas_f32 v17, v17, v18, v20
	v_div_fixup_f32 v15, v17, v15, v16
	ds_write_b32 v1, v15
.LBB8_11:                               ;   in Loop: Header=BB8_9 Depth=2
	s_or_b64 exec, exec, s[34:35]
	v_cmp_gt_u32_e32 vcc, s37, v8
	s_and_b64 s[44:45], s[30:31], vcc
	s_waitcnt lgkmcnt(0)
	s_barrier
	s_and_saveexec_b64 s[34:35], s[44:45]
	s_cbranch_execz .LBB8_13
; %bb.12:                               ;   in Loop: Header=BB8_9 Depth=2
	flat_load_dword v15, v[4:5]
	v_mov_b32_e32 v16, s38
	ds_read_b32 v16, v16 offset:4
	ds_read_b32 v17, v1
	s_waitcnt vmcnt(0) lgkmcnt(0)
	v_fma_f32 v15, -v15, v16, v17
	ds_write_b32 v1, v15
.LBB8_13:                               ;   in Loop: Header=BB8_9 Depth=2
	s_or_b64 exec, exec, s[34:35]
	s_add_i32 s39, s37, -1
	v_cmp_eq_u32_e32 vcc, s39, v0
	s_and_b64 s[44:45], vcc, s[28:29]
	s_and_saveexec_b64 s[34:35], s[44:45]
	s_cbranch_execz .LBB8_15
; %bb.14:                               ;   in Loop: Header=BB8_9 Depth=2
	flat_load_dword v15, v[6:7]
	ds_read_b32 v16, v1
	s_waitcnt vmcnt(0) lgkmcnt(0)
	v_div_scale_f32 v17, s[44:45], v15, v15, v16
	v_rcp_f32_e32 v18, v17
	v_div_scale_f32 v19, vcc, v16, v15, v16
	v_fma_f32 v20, -v17, v18, 1.0
	v_fmac_f32_e32 v18, v20, v18
	v_mul_f32_e32 v20, v19, v18
	v_fma_f32 v21, -v17, v20, v19
	v_fmac_f32_e32 v20, v21, v18
	v_fma_f32 v17, -v17, v20, v19
	v_div_fmas_f32 v17, v17, v18, v20
	v_div_fixup_f32 v15, v17, v15, v16
	ds_write_b32 v1, v15
.LBB8_15:                               ;   in Loop: Header=BB8_9 Depth=2
	s_or_b64 exec, exec, s[34:35]
	v_cmp_gt_u32_e32 vcc, s39, v8
	s_and_b64 s[44:45], s[30:31], vcc
	s_waitcnt lgkmcnt(0)
	s_barrier
	s_and_saveexec_b64 s[34:35], s[44:45]
	s_cbranch_execz .LBB8_8
; %bb.16:                               ;   in Loop: Header=BB8_9 Depth=2
	v_add_co_u32_e32 v16, vcc, -4, v4
	s_nop 1
	v_addc_co_u32_e32 v17, vcc, -1, v5, vcc
	flat_load_dword v15, v[16:17]
	v_mov_b32_e32 v16, s38
	ds_read_b32 v16, v16
	ds_read_b32 v17, v1
	s_waitcnt vmcnt(0) lgkmcnt(0)
	v_fma_f32 v15, -v15, v16, v17
	ds_write_b32 v1, v15
	s_branch .LBB8_8
.LBB8_17:                               ;   in Loop: Header=BB8_5 Depth=1
	s_add_i32 s44, s36, 0xfffffe00
	s_cmp_lt_i32 s36, 1
	s_cselect_b64 s[28:29], -1, 0
	s_and_b64 vcc, exec, s[28:29]
	s_waitcnt lgkmcnt(0)
	s_barrier
	s_cbranch_vccnz .LBB8_41
; %bb.18:                               ;   in Loop: Header=BB8_5 Depth=1
	v_ashrrev_i32_e32 v7, 31, v13
	v_mad_i64_i32 v[4:5], s[30:31], v13, -4, s[2:3]
	v_mov_b32_e32 v8, s33
	v_sub_co_u32_e32 v6, vcc, s12, v13
	s_mov_b64 s[30:31], 0
	s_nop 0
	v_subb_co_u32_e32 v7, vcc, v8, v7, vcc
	v_mov_b32_e32 v15, v13
	v_mov_b32_e32 v16, v0
	s_mov_b32 s45, s44
                                        ; implicit-def: $sgpr34_sgpr35
	s_branch .LBB8_21
.LBB8_19:                               ;   in Loop: Header=BB8_21 Depth=2
	v_mad_u64_u32 v[8:9], s[38:39], s6, v17, 0
	v_mov_b32_e32 v20, v9
	v_mad_u64_u32 v[20:21], s[38:39], s7, v17, v[20:21]
	v_mov_b32_e32 v9, v20
	v_lshl_add_u64 v[8:9], v[8:9], 2, s[4:5]
	flat_load_dword v17, v[8:9]
	s_add_i32 s46, s45, 0xfffffe00
	s_cmp_lt_i32 s45, 1
	s_cselect_b64 s[38:39], -1, 0
	s_andn2_b64 s[34:35], s[34:35], exec
	s_and_b64 s[38:39], s[38:39], exec
	v_add_u32_e32 v16, 0xfffffe00, v16
	v_lshl_add_u64 v[4:5], v[4:5], 0, s[24:25]
	v_lshl_add_u64 v[6:7], v[6:7], 0, s[26:27]
	v_add_u32_e32 v15, 0xfffffe00, v15
	s_or_b64 s[34:35], s[34:35], s[38:39]
	s_mov_b32 s45, s46
	s_waitcnt vmcnt(0) lgkmcnt(0)
	v_sub_f32_e32 v17, v17, v18
	flat_store_dword v[8:9], v17
.LBB8_20:                               ;   in Loop: Header=BB8_21 Depth=2
	s_or_b64 exec, exec, s[36:37]
	s_and_b64 s[36:37], exec, s[34:35]
	s_or_b64 s[30:31], s[36:37], s[30:31]
	s_andn2_b64 exec, exec, s[30:31]
	s_cbranch_execz .LBB8_40
.LBB8_21:                               ;   Parent Loop BB8_5 Depth=1
                                        ; =>  This Loop Header: Depth=2
                                        ;       Child Loop BB8_24 Depth 3
	v_add_u32_e32 v17, s45, v0
	v_cmp_lt_i32_e32 vcc, -1, v17
	s_or_b64 s[34:35], s[34:35], exec
	s_and_saveexec_b64 s[36:37], vcc
	s_cbranch_execz .LBB8_20
; %bb.22:                               ;   in Loop: Header=BB8_21 Depth=2
	v_mad_u64_u32 v[8:9], s[38:39], v6, v15, 0
	v_mov_b32_e32 v18, v9
	v_mad_u64_u32 v[18:19], s[38:39], v7, v15, v[18:19]
	v_mov_b32_e32 v9, v18
	v_lshlrev_b64 v[8:9], 1, v[8:9]
	v_and_b32_e32 v8, -4, v8
	v_lshl_add_u64 v[8:9], v[4:5], 0, v[8:9]
	v_mov_b32_e32 v18, 0
	s_movk_i32 s46, 0x1800
	s_movk_i32 s47, 0x200
	s_branch .LBB8_24
.LBB8_23:                               ;   in Loop: Header=BB8_24 Depth=3
	s_or_b64 exec, exec, s[38:39]
	s_waitcnt lgkmcnt(0)
	v_add_f32_e32 v18, v18, v19
	v_add_f32_e32 v18, v18, v21
	;; [unrolled: 1-line block ×3, first 2 shown]
	s_add_i32 s46, s46, 16
	s_add_i32 s47, s47, -4
	v_add_f32_e32 v18, v18, v20
	s_cmp_eq_u32 s47, 0
	v_lshl_add_u64 v[8:9], v[8:9], 0, 16
	s_cbranch_scc1 .LBB8_19
.LBB8_24:                               ;   Parent Loop BB8_5 Depth=1
                                        ;     Parent Loop BB8_21 Depth=2
                                        ; =>    This Inner Loop Header: Depth=3
	v_add_u32_e32 v20, s47, v16
	v_cmp_ne_u32_e32 vcc, s40, v20
	s_or_b64 s[38:39], s[22:23], vcc
                                        ; implicit-def: $vgpr19
	s_and_saveexec_b64 s[48:49], s[38:39]
	s_xor_b64 s[38:39], exec, s[48:49]
	s_cbranch_execz .LBB8_26
; %bb.25:                               ;   in Loop: Header=BB8_24 Depth=3
	flat_load_dword v19, v[8:9]
	v_mov_b32_e32 v21, s46
	ds_read_b32 v21, v21
	s_waitcnt vmcnt(0) lgkmcnt(0)
	v_mul_f32_e32 v19, v19, v21
.LBB8_26:                               ;   in Loop: Header=BB8_24 Depth=3
	s_andn2_saveexec_b64 s[38:39], s[38:39]
; %bb.27:                               ;   in Loop: Header=BB8_24 Depth=3
	v_mov_b32_e32 v19, s46
	ds_read_b32 v19, v19
; %bb.28:                               ;   in Loop: Header=BB8_24 Depth=3
	s_or_b64 exec, exec, s[38:39]
	v_cmp_ne_u32_e32 vcc, s41, v20
	s_or_b64 s[38:39], s[22:23], vcc
                                        ; implicit-def: $vgpr21
	s_and_saveexec_b64 s[48:49], s[38:39]
	s_xor_b64 s[38:39], exec, s[48:49]
	s_cbranch_execz .LBB8_30
; %bb.29:                               ;   in Loop: Header=BB8_24 Depth=3
	flat_load_dword v21, v[8:9] offset:4
	v_mov_b32_e32 v22, s46
	ds_read_b32 v22, v22 offset:4
	s_waitcnt vmcnt(0) lgkmcnt(0)
	v_mul_f32_e32 v21, v21, v22
.LBB8_30:                               ;   in Loop: Header=BB8_24 Depth=3
	s_andn2_saveexec_b64 s[38:39], s[38:39]
; %bb.31:                               ;   in Loop: Header=BB8_24 Depth=3
	v_mov_b32_e32 v21, s46
	ds_read_b32 v21, v21 offset:4
; %bb.32:                               ;   in Loop: Header=BB8_24 Depth=3
	s_or_b64 exec, exec, s[38:39]
	v_cmp_ne_u32_e32 vcc, s42, v20
	s_or_b64 s[38:39], s[22:23], vcc
                                        ; implicit-def: $vgpr22
	s_and_saveexec_b64 s[48:49], s[38:39]
	s_xor_b64 s[38:39], exec, s[48:49]
	s_cbranch_execz .LBB8_34
; %bb.33:                               ;   in Loop: Header=BB8_24 Depth=3
	flat_load_dword v22, v[8:9] offset:8
	v_mov_b32_e32 v23, s46
	ds_read_b32 v23, v23 offset:8
	s_waitcnt vmcnt(0) lgkmcnt(0)
	v_mul_f32_e32 v22, v22, v23
.LBB8_34:                               ;   in Loop: Header=BB8_24 Depth=3
	s_andn2_saveexec_b64 s[38:39], s[38:39]
; %bb.35:                               ;   in Loop: Header=BB8_24 Depth=3
	v_mov_b32_e32 v22, s46
	ds_read_b32 v22, v22 offset:8
; %bb.36:                               ;   in Loop: Header=BB8_24 Depth=3
	s_or_b64 exec, exec, s[38:39]
	v_cmp_ne_u32_e32 vcc, s43, v20
	s_or_b64 s[38:39], s[22:23], vcc
                                        ; implicit-def: $vgpr20
	s_and_saveexec_b64 s[48:49], s[38:39]
	s_xor_b64 s[38:39], exec, s[48:49]
	s_cbranch_execz .LBB8_38
; %bb.37:                               ;   in Loop: Header=BB8_24 Depth=3
	flat_load_dword v20, v[8:9] offset:12
	v_mov_b32_e32 v23, s46
	ds_read_b32 v23, v23 offset:12
	s_waitcnt vmcnt(0) lgkmcnt(0)
	v_mul_f32_e32 v20, v20, v23
.LBB8_38:                               ;   in Loop: Header=BB8_24 Depth=3
	s_andn2_saveexec_b64 s[38:39], s[38:39]
	s_cbranch_execz .LBB8_23
; %bb.39:                               ;   in Loop: Header=BB8_24 Depth=3
	v_mov_b32_e32 v20, s46
	ds_read_b32 v20, v20 offset:12
	s_branch .LBB8_23
.LBB8_40:                               ;   in Loop: Header=BB8_5 Depth=1
	s_or_b64 exec, exec, s[30:31]
.LBB8_41:                               ;   in Loop: Header=BB8_5 Depth=1
	s_and_saveexec_b64 s[30:31], s[0:1]
	s_cbranch_execz .LBB8_4
; %bb.42:                               ;   in Loop: Header=BB8_5 Depth=1
	ds_read_b32 v8, v1
	v_mad_u64_u32 v[4:5], s[0:1], s6, v14, 0
	v_mov_b32_e32 v6, v5
	v_mad_u64_u32 v[6:7], s[0:1], s7, v14, v[6:7]
	v_mov_b32_e32 v5, v6
	v_lshl_add_u64 v[4:5], v[4:5], 2, s[4:5]
	s_waitcnt lgkmcnt(0)
	flat_store_dword v[4:5], v8
	s_branch .LBB8_4
.LBB8_43:
	s_mov_b64 s[0:1], 0
.LBB8_44:
	s_andn2_b64 vcc, exec, s[0:1]
	s_cbranch_vccnz .LBB8_92
; %bb.45:
	s_andn2_b64 vcc, exec, s[14:15]
	s_cbranch_vccnz .LBB8_92
; %bb.46:
	v_mov_b32_e32 v1, 0x800
	v_mov_b32_e32 v3, 0
	v_lshl_or_b32 v14, v0, 2, v1
	v_mov_b32_e32 v1, v3
	v_mad_u64_u32 v[4:5], s[0:1], v0, v0, v[0:1]
	v_lshlrev_b32_e32 v2, 10, v0
	s_mov_b64 s[0:1], 0x40200
	v_lshl_add_u64 v[6:7], v[2:3], 0, s[0:1]
	v_or_b32_e32 v2, 0x200, v0
	s_mov_b32 s12, 0
	v_add_u32_e32 v1, 0x201, v0
	s_xor_b64 s[22:23], s[8:9], -1
	s_mov_b64 s[24:25], 0x200
	s_mov_b64 s[26:27], 0x80000
	v_mov_b64_e32 v[8:9], v[2:3]
	s_mov_b64 s[28:29], s[10:11]
	s_branch .LBB8_48
.LBB8_47:                               ;   in Loop: Header=BB8_48 Depth=1
	s_or_b64 exec, exec, s[30:31]
	s_add_u32 s28, s28, 0x800
	v_lshl_add_u64 v[10:11], v[6:7], 0, s[26:27]
	s_addc_u32 s29, s29, 0
	v_lshl_add_u64 v[4:5], v[4:5], 0, v[6:7]
	v_lshl_add_u64 v[8:9], v[8:9], 0, s[24:25]
	v_add_u32_e32 v1, 0x200, v1
	s_and_b64 vcc, exec, s[2:3]
	v_mov_b64_e32 v[6:7], v[10:11]
	s_mov_b32 s12, s33
	s_waitcnt lgkmcnt(0)
	s_barrier
	s_cbranch_vccnz .LBB8_92
.LBB8_48:                               ; =>This Loop Header: Depth=1
                                        ;     Child Loop BB8_52 Depth 2
                                        ;     Child Loop BB8_66 Depth 2
                                        ;       Child Loop BB8_69 Depth 3
	v_add_u32_e32 v15, s12, v0
	v_cmp_le_i32_e32 vcc, s13, v15
	v_cmp_gt_i32_e64 s[0:1], s13, v15
	s_and_saveexec_b64 s[2:3], s[0:1]
	s_cbranch_execz .LBB8_50
; %bb.49:                               ;   in Loop: Header=BB8_48 Depth=1
	v_mad_u64_u32 v[10:11], s[30:31], s6, v15, 0
	v_mov_b32_e32 v2, v11
	v_mad_u64_u32 v[12:13], s[30:31], s7, v15, v[2:3]
	v_mov_b32_e32 v11, v12
	v_lshl_add_u64 v[10:11], v[10:11], 2, s[4:5]
	flat_load_dword v2, v[10:11]
	s_waitcnt vmcnt(0) lgkmcnt(0)
	ds_write_b32 v14, v2
.LBB8_50:                               ;   in Loop: Header=BB8_48 Depth=1
	s_or_b64 exec, exec, s[2:3]
	v_or_b32_e32 v2, s12, v0
	v_add_u32_e32 v12, 1, v2
	v_mad_u64_u32 v[12:13], s[30:31], v12, v2, 0
	v_lshlrev_b64 v[12:13], 1, v[12:13]
	v_lshlrev_b64 v[10:11], 1, v[4:5]
	v_and_b32_e32 v12, -4, v12
	v_and_b32_e32 v10, -4, v10
	v_lshl_add_u64 v[12:13], s[10:11], 0, v[12:13]
	v_lshl_add_u64 v[10:11], s[28:29], 0, v[10:11]
	v_cmp_le_i32_e64 s[2:3], s13, v2
	v_lshl_add_u64 v[12:13], v[2:3], 2, v[12:13]
	s_mov_b32 s36, 0
	s_movk_i32 s33, 0x800
	s_xor_b64 s[30:31], vcc, -1
	s_waitcnt lgkmcnt(0)
	s_barrier
	s_branch .LBB8_52
.LBB8_51:                               ;   in Loop: Header=BB8_52 Depth=2
	s_or_b64 exec, exec, s[34:35]
	s_add_i32 s33, s33, 8
	s_add_i32 s36, s37, 1
	s_cmpk_eq_i32 s36, 0x200
	v_lshl_add_u64 v[10:11], v[10:11], 0, 8
	s_cbranch_scc1 .LBB8_62
.LBB8_52:                               ;   Parent Loop BB8_48 Depth=1
                                        ; =>  This Inner Loop Header: Depth=2
	v_cmp_ne_u32_e32 vcc, s36, v0
	s_or_b64 s[34:35], s[8:9], vcc
	s_nor_b64 s[38:39], s[34:35], s[2:3]
	s_and_saveexec_b64 s[34:35], s[38:39]
	s_cbranch_execz .LBB8_54
; %bb.53:                               ;   in Loop: Header=BB8_52 Depth=2
	flat_load_dword v2, v[12:13]
	ds_read_b32 v16, v14
	s_waitcnt vmcnt(0) lgkmcnt(0)
	v_div_scale_f32 v17, s[38:39], v2, v2, v16
	v_rcp_f32_e32 v18, v17
	v_div_scale_f32 v19, vcc, v16, v2, v16
	v_fma_f32 v20, -v17, v18, 1.0
	v_fmac_f32_e32 v18, v20, v18
	v_mul_f32_e32 v20, v19, v18
	v_fma_f32 v21, -v17, v20, v19
	v_fmac_f32_e32 v20, v21, v18
	v_fma_f32 v17, -v17, v20, v19
	v_div_fmas_f32 v17, v17, v18, v20
	v_div_fixup_f32 v2, v17, v2, v16
	ds_write_b32 v14, v2
.LBB8_54:                               ;   in Loop: Header=BB8_52 Depth=2
	s_or_b64 exec, exec, s[34:35]
	v_cmp_lt_u32_e32 vcc, s36, v0
	s_waitcnt lgkmcnt(0)
	s_barrier
	s_and_saveexec_b64 s[34:35], vcc
	s_cbranch_execz .LBB8_57
; %bb.55:                               ;   in Loop: Header=BB8_52 Depth=2
	s_add_i32 s37, s12, s36
	s_cmp_lt_i32 s37, s13
	s_cselect_b64 s[38:39], -1, 0
	s_and_b64 s[38:39], s[30:31], s[38:39]
	s_and_b64 exec, exec, s[38:39]
	s_cbranch_execz .LBB8_57
; %bb.56:                               ;   in Loop: Header=BB8_52 Depth=2
	flat_load_dword v2, v[10:11]
	v_mov_b32_e32 v16, s33
	ds_read_b32 v16, v16
	ds_read_b32 v17, v14
	s_waitcnt vmcnt(0) lgkmcnt(0)
	v_fma_f32 v2, -v2, v16, v17
	ds_write_b32 v14, v2
.LBB8_57:                               ;   in Loop: Header=BB8_52 Depth=2
	s_or_b64 exec, exec, s[34:35]
	s_add_i32 s37, s36, 1
	v_cmp_ne_u32_e32 vcc, s37, v0
	s_or_b64 s[34:35], s[8:9], vcc
	s_nor_b64 s[38:39], s[34:35], s[2:3]
	s_and_saveexec_b64 s[34:35], s[38:39]
	s_cbranch_execz .LBB8_59
; %bb.58:                               ;   in Loop: Header=BB8_52 Depth=2
	flat_load_dword v2, v[12:13]
	ds_read_b32 v16, v14
	s_waitcnt vmcnt(0) lgkmcnt(0)
	v_div_scale_f32 v17, s[38:39], v2, v2, v16
	v_rcp_f32_e32 v18, v17
	v_div_scale_f32 v19, vcc, v16, v2, v16
	v_fma_f32 v20, -v17, v18, 1.0
	v_fmac_f32_e32 v18, v20, v18
	v_mul_f32_e32 v20, v19, v18
	v_fma_f32 v21, -v17, v20, v19
	v_fmac_f32_e32 v20, v21, v18
	v_fma_f32 v17, -v17, v20, v19
	v_div_fmas_f32 v17, v17, v18, v20
	v_div_fixup_f32 v2, v17, v2, v16
	ds_write_b32 v14, v2
.LBB8_59:                               ;   in Loop: Header=BB8_52 Depth=2
	s_or_b64 exec, exec, s[34:35]
	v_cmp_lt_u32_e32 vcc, s37, v0
	s_waitcnt lgkmcnt(0)
	s_barrier
	s_and_saveexec_b64 s[34:35], vcc
	s_cbranch_execz .LBB8_51
; %bb.60:                               ;   in Loop: Header=BB8_52 Depth=2
	s_add_i32 s36, s12, s36
	s_add_i32 s36, s36, 1
	s_cmp_lt_i32 s36, s13
	s_cselect_b64 s[38:39], -1, 0
	s_and_b64 s[38:39], s[30:31], s[38:39]
	s_and_b64 exec, exec, s[38:39]
	s_cbranch_execz .LBB8_51
; %bb.61:                               ;   in Loop: Header=BB8_52 Depth=2
	flat_load_dword v2, v[10:11] offset:4
	v_mov_b32_e32 v16, s33
	ds_read_b32 v16, v16 offset:4
	ds_read_b32 v17, v14
	s_waitcnt vmcnt(0) lgkmcnt(0)
	v_fma_f32 v2, -v2, v16, v17
	ds_write_b32 v14, v2
	s_branch .LBB8_51
.LBB8_62:                               ;   in Loop: Header=BB8_48 Depth=1
	s_add_i32 s33, s12, 0x200
	s_cmp_ge_i32 s33, s13
	s_cselect_b64 s[2:3], -1, 0
	s_and_b64 vcc, exec, s[2:3]
	s_waitcnt lgkmcnt(0)
	s_barrier
	s_cbranch_vccnz .LBB8_90
; %bb.63:                               ;   in Loop: Header=BB8_48 Depth=1
	s_mov_b64 s[30:31], 0
	v_mov_b32_e32 v2, v1
	v_mov_b64_e32 v[10:11], v[8:9]
	v_mov_b32_e32 v16, v0
	s_mov_b32 s40, s33
                                        ; implicit-def: $sgpr34_sgpr35
	s_branch .LBB8_66
.LBB8_64:                               ;   in Loop: Header=BB8_66 Depth=2
	v_mad_u64_u32 v[12:13], s[38:39], s6, v17, 0
	v_mov_b32_e32 v20, v13
	v_mad_u64_u32 v[20:21], s[38:39], s7, v17, v[20:21]
	v_mov_b32_e32 v13, v20
	v_lshl_add_u64 v[12:13], v[12:13], 2, s[4:5]
	flat_load_dword v17, v[12:13]
	s_addk_i32 s40, 0x200
	s_cmp_ge_i32 s40, s13
	s_cselect_b64 s[38:39], -1, 0
	s_andn2_b64 s[34:35], s[34:35], exec
	s_and_b64 s[38:39], s[38:39], exec
	v_lshl_add_u64 v[10:11], v[10:11], 0, s[24:25]
	v_add_u32_e32 v2, 0x200, v2
	s_or_b64 s[34:35], s[34:35], s[38:39]
	s_waitcnt vmcnt(0) lgkmcnt(0)
	v_sub_f32_e32 v17, v17, v18
	flat_store_dword v[12:13], v17
.LBB8_65:                               ;   in Loop: Header=BB8_66 Depth=2
	s_or_b64 exec, exec, s[36:37]
	s_and_b64 s[36:37], exec, s[34:35]
	s_or_b64 s[30:31], s[36:37], s[30:31]
	s_andn2_b64 exec, exec, s[30:31]
	s_cbranch_execz .LBB8_89
.LBB8_66:                               ;   Parent Loop BB8_48 Depth=1
                                        ; =>  This Loop Header: Depth=2
                                        ;       Child Loop BB8_69 Depth 3
	v_add_u32_e32 v17, s40, v0
	v_cmp_gt_i32_e32 vcc, s13, v17
	s_or_b64 s[34:35], s[34:35], exec
	s_and_saveexec_b64 s[36:37], vcc
	s_cbranch_execz .LBB8_65
; %bb.67:                               ;   in Loop: Header=BB8_66 Depth=2
	v_mad_u64_u32 v[12:13], s[38:39], v10, v2, 0
	v_mov_b32_e32 v18, v13
	v_mad_u64_u32 v[18:19], s[38:39], v11, v2, v[18:19]
	v_mov_b32_e32 v13, v18
	v_lshlrev_b64 v[12:13], 1, v[12:13]
	v_and_b32_e32 v12, -4, v12
	v_lshl_add_u64 v[12:13], s[28:29], 0, v[12:13]
	v_add_u32_e32 v19, 0x1fd, v16
	v_add_u32_e32 v20, 0x1fe, v16
	v_add_u32_e32 v21, 0x1ff, v16
	v_add_u32_e32 v16, 0x200, v16
	v_mov_b32_e32 v18, 0
	s_mov_b32 s41, 0
	s_movk_i32 s42, 0x800
	s_branch .LBB8_69
.LBB8_68:                               ;   in Loop: Header=BB8_69 Depth=3
	s_or_b64 exec, exec, s[38:39]
	s_add_i32 s41, s41, 4
	s_add_i32 s42, s42, 16
	s_cmpk_eq_i32 s41, 0x200
	v_lshl_add_u64 v[12:13], v[12:13], 0, 16
	s_cbranch_scc1 .LBB8_64
.LBB8_69:                               ;   Parent Loop BB8_48 Depth=1
                                        ;     Parent Loop BB8_66 Depth=2
                                        ; =>    This Inner Loop Header: Depth=3
	v_cmp_ne_u32_e32 vcc, s41, v16
	s_add_i32 s43, s12, s41
	s_or_b64 s[38:39], s[22:23], vcc
	s_and_saveexec_b64 s[44:45], s[38:39]
	s_xor_b64 s[38:39], exec, s[44:45]
	s_cbranch_execz .LBB8_72
; %bb.70:                               ;   in Loop: Header=BB8_69 Depth=3
	s_cmp_ge_i32 s43, s13
	s_cbranch_scc1 .LBB8_72
; %bb.71:                               ;   in Loop: Header=BB8_69 Depth=3
	flat_load_dword v22, v[12:13]
	v_mov_b32_e32 v23, s42
	ds_read_b32 v23, v23
	s_waitcnt vmcnt(0) lgkmcnt(0)
	v_fmac_f32_e32 v18, v22, v23
.LBB8_72:                               ;   in Loop: Header=BB8_69 Depth=3
	s_andn2_saveexec_b64 s[38:39], s[38:39]
	s_cbranch_execz .LBB8_74
; %bb.73:                               ;   in Loop: Header=BB8_69 Depth=3
	v_mov_b32_e32 v22, s42
	ds_read_b32 v22, v22
	s_waitcnt lgkmcnt(0)
	v_add_f32_e32 v18, v18, v22
.LBB8_74:                               ;   in Loop: Header=BB8_69 Depth=3
	s_or_b64 exec, exec, s[38:39]
	v_cmp_ne_u32_e32 vcc, s41, v21
	s_or_b64 s[38:39], s[22:23], vcc
	s_and_saveexec_b64 s[44:45], s[38:39]
	s_xor_b64 s[38:39], exec, s[44:45]
	s_cbranch_execz .LBB8_77
; %bb.75:                               ;   in Loop: Header=BB8_69 Depth=3
	s_add_i32 s44, s43, 1
	s_cmp_ge_i32 s44, s13
	s_cbranch_scc1 .LBB8_77
; %bb.76:                               ;   in Loop: Header=BB8_69 Depth=3
	flat_load_dword v22, v[12:13] offset:4
	v_mov_b32_e32 v23, s42
	ds_read_b32 v23, v23 offset:4
	s_waitcnt vmcnt(0) lgkmcnt(0)
	v_fmac_f32_e32 v18, v22, v23
.LBB8_77:                               ;   in Loop: Header=BB8_69 Depth=3
	s_andn2_saveexec_b64 s[38:39], s[38:39]
	s_cbranch_execz .LBB8_79
; %bb.78:                               ;   in Loop: Header=BB8_69 Depth=3
	v_mov_b32_e32 v22, s42
	ds_read_b32 v22, v22 offset:4
	s_waitcnt lgkmcnt(0)
	v_add_f32_e32 v18, v18, v22
.LBB8_79:                               ;   in Loop: Header=BB8_69 Depth=3
	s_or_b64 exec, exec, s[38:39]
	v_cmp_ne_u32_e32 vcc, s41, v20
	s_or_b64 s[38:39], s[22:23], vcc
	s_and_saveexec_b64 s[44:45], s[38:39]
	s_xor_b64 s[38:39], exec, s[44:45]
	s_cbranch_execz .LBB8_82
; %bb.80:                               ;   in Loop: Header=BB8_69 Depth=3
	s_add_i32 s44, s43, 2
	s_cmp_ge_i32 s44, s13
	s_cbranch_scc1 .LBB8_82
; %bb.81:                               ;   in Loop: Header=BB8_69 Depth=3
	flat_load_dword v22, v[12:13] offset:8
	v_mov_b32_e32 v23, s42
	ds_read_b32 v23, v23 offset:8
	s_waitcnt vmcnt(0) lgkmcnt(0)
	v_fmac_f32_e32 v18, v22, v23
.LBB8_82:                               ;   in Loop: Header=BB8_69 Depth=3
	s_andn2_saveexec_b64 s[38:39], s[38:39]
	s_cbranch_execz .LBB8_84
; %bb.83:                               ;   in Loop: Header=BB8_69 Depth=3
	v_mov_b32_e32 v22, s42
	ds_read_b32 v22, v22 offset:8
	s_waitcnt lgkmcnt(0)
	v_add_f32_e32 v18, v18, v22
.LBB8_84:                               ;   in Loop: Header=BB8_69 Depth=3
	s_or_b64 exec, exec, s[38:39]
	v_cmp_ne_u32_e32 vcc, s41, v19
	s_or_b64 s[38:39], s[22:23], vcc
	s_and_saveexec_b64 s[44:45], s[38:39]
	s_xor_b64 s[38:39], exec, s[44:45]
	s_cbranch_execz .LBB8_87
; %bb.85:                               ;   in Loop: Header=BB8_69 Depth=3
	s_add_i32 s43, s43, 3
	s_cmp_ge_i32 s43, s13
	s_cbranch_scc1 .LBB8_87
; %bb.86:                               ;   in Loop: Header=BB8_69 Depth=3
	flat_load_dword v22, v[12:13] offset:12
	v_mov_b32_e32 v23, s42
	ds_read_b32 v23, v23 offset:12
	s_waitcnt vmcnt(0) lgkmcnt(0)
	v_fmac_f32_e32 v18, v22, v23
.LBB8_87:                               ;   in Loop: Header=BB8_69 Depth=3
	s_andn2_saveexec_b64 s[38:39], s[38:39]
	s_cbranch_execz .LBB8_68
; %bb.88:                               ;   in Loop: Header=BB8_69 Depth=3
	v_mov_b32_e32 v22, s42
	ds_read_b32 v22, v22 offset:12
	s_waitcnt lgkmcnt(0)
	v_add_f32_e32 v18, v18, v22
	s_branch .LBB8_68
.LBB8_89:                               ;   in Loop: Header=BB8_48 Depth=1
	s_or_b64 exec, exec, s[30:31]
.LBB8_90:                               ;   in Loop: Header=BB8_48 Depth=1
	s_and_saveexec_b64 s[30:31], s[0:1]
	s_cbranch_execz .LBB8_47
; %bb.91:                               ;   in Loop: Header=BB8_48 Depth=1
	ds_read_b32 v16, v14
	v_mad_u64_u32 v[10:11], s[0:1], s6, v15, 0
	v_mov_b32_e32 v2, v11
	v_mad_u64_u32 v[12:13], s[0:1], s7, v15, v[2:3]
	v_mov_b32_e32 v11, v12
	v_lshl_add_u64 v[10:11], v[10:11], 2, s[4:5]
	s_waitcnt lgkmcnt(0)
	flat_store_dword v[10:11], v16
	s_branch .LBB8_47
.LBB8_92:
	s_mov_b64 s[0:1], 0
.LBB8_93:
	s_andn2_b64 vcc, exec, s[0:1]
	s_cbranch_vccnz .LBB8_180
; %bb.94:
	s_mov_b64 s[0:1], -1
	s_and_b64 vcc, exec, s[20:21]
	s_cbranch_vccz .LBB8_134
; %bb.95:
	s_andn2_b64 vcc, exec, s[14:15]
	s_cbranch_vccnz .LBB8_133
; %bb.96:
	s_lshl_b32 s20, s13, 1
	s_or_b32 s12, s20, 1
	s_ashr_i32 s21, s20, 31
	s_add_u32 s16, s16, s18
	s_addc_u32 s17, s17, s19
	s_lshl_b64 s[0:1], s[20:21], 9
	s_add_u32 s40, s0, 0xfffbfe00
	s_addc_u32 s41, s1, -1
	s_lshl_b64 s[2:3], s[20:21], 1
	s_add_u32 s18, s2, -6
	s_addc_u32 s19, s3, -1
	v_mov_b32_e32 v1, 0
	s_add_u32 s38, s0, 0xfffc0200
	v_lshlrev_b32_e32 v2, 2, v0
	v_mov_b32_e32 v3, v1
	s_addc_u32 s39, s1, -1
	v_lshl_add_u64 v[4:5], s[16:17], 0, v[2:3]
	s_add_u32 s22, s2, -2
	v_lshl_add_u64 v[6:7], v[4:5], 0, -4
	s_addc_u32 s23, s3, -1
	v_or_b32_e32 v8, 0x200, v0
	s_mov_b64 s[24:25], -1
	s_mov_b64 s[26:27], 0
	s_mov_b64 s[28:29], 0x200
	;; [unrolled: 1-line block ×6, first 2 shown]
	s_branch .LBB8_98
.LBB8_97:                               ;   in Loop: Header=BB8_98 Depth=1
	s_or_b64 exec, exec, s[42:43]
	s_add_u32 s0, s40, 0xfff80000
	s_addc_u32 s1, s41, -1
	s_add_u32 s20, s20, s40
	s_addc_u32 s21, s21, s41
	s_add_u32 s18, s18, 0xfffff800
	s_addc_u32 s19, s19, -1
	s_add_u32 s40, s38, 0xfff80000
	s_addc_u32 s41, s39, -1
	s_add_u32 s26, s26, s38
	s_addc_u32 s27, s27, s39
	s_add_u32 s22, s22, 0xfffff800
	s_addc_u32 s23, s23, -1
	s_add_u32 s24, s24, 0xfffffe00
	s_addc_u32 s25, s25, -1
	s_add_u32 s36, s36, 0xfffffe00
	v_add_u32_e32 v8, 0x200, v8
	s_addc_u32 s37, s37, -1
	s_and_b64 vcc, exec, s[44:45]
	s_mov_b64 s[38:39], s[40:41]
	s_mov_b64 s[40:41], s[0:1]
	;; [unrolled: 1-line block ×3, first 2 shown]
	s_waitcnt lgkmcnt(0)
	s_barrier
	s_cbranch_vccnz .LBB8_133
.LBB8_98:                               ; =>This Loop Header: Depth=1
                                        ;     Child Loop BB8_102 Depth 2
                                        ;     Child Loop BB8_116 Depth 2
                                        ;       Child Loop BB8_118 Depth 3
	v_add_u32_e32 v3, s42, v0
	v_cmp_le_i32_e32 vcc, s13, v3
	v_cmp_gt_i32_e64 s[0:1], s13, v3
	s_and_saveexec_b64 s[2:3], s[0:1]
	s_cbranch_execz .LBB8_100
; %bb.99:                               ;   in Loop: Header=BB8_98 Depth=1
	v_mad_u64_u32 v[10:11], s[44:45], s6, v3, 0
	v_mov_b32_e32 v12, v11
	v_mad_u64_u32 v[12:13], s[44:45], s7, v3, v[12:13]
	v_mov_b32_e32 v11, v12
	v_lshl_add_u64 v[10:11], v[10:11], 2, s[4:5]
	flat_load_dword v9, v[10:11]
	s_waitcnt vmcnt(0) lgkmcnt(0)
	ds_write_b32 v2, v9
.LBB8_100:                              ;   in Loop: Header=BB8_98 Depth=1
	s_or_b64 exec, exec, s[2:3]
	v_or_b32_e32 v9, s42, v0
	v_sub_u32_e32 v10, s12, v9
	v_ashrrev_i32_e32 v13, 31, v10
	v_mad_u64_u32 v[10:11], s[44:45], v10, v9, 0
	v_mov_b32_e32 v12, v11
	v_mad_u64_u32 v[12:13], s[44:45], v13, v9, v[12:13]
	v_mov_b32_e32 v11, v12
	v_lshlrev_b64 v[10:11], 1, v[10:11]
	v_and_b32_e32 v10, -4, v10
	v_cmp_le_i32_e64 s[2:3], s13, v9
	v_lshl_add_u64 v[10:11], s[10:11], 0, v[10:11]
	s_mov_b32 s33, 0
	s_mov_b64 s[54:55], 0
	s_xor_b64 s[44:45], vcc, -1
	s_mov_b64 s[46:47], s[26:27]
	s_mov_b64 s[50:51], s[22:23]
	v_mov_b64_e32 v[12:13], v[4:5]
	s_mov_b64 s[48:49], s[20:21]
	s_mov_b64 s[52:53], s[18:19]
	v_mov_b64_e32 v[14:15], v[6:7]
	s_waitcnt lgkmcnt(0)
	s_barrier
	s_branch .LBB8_102
.LBB8_101:                              ;   in Loop: Header=BB8_102 Depth=2
	s_or_b64 exec, exec, s[56:57]
	s_add_i32 s33, s33, 8
	s_add_u32 s56, s52, -8
	s_addc_u32 s57, s53, -1
	s_add_u32 s48, s48, s52
	s_addc_u32 s49, s49, s53
	s_add_u32 s52, s50, -8
	s_addc_u32 s53, s51, -1
	s_add_u32 s46, s46, s50
	s_addc_u32 s47, s47, s51
	s_add_u32 s54, s58, 1
	s_addc_u32 s55, s55, 0
	v_lshl_add_u64 v[14:15], v[14:15], 0, -8
	v_lshl_add_u64 v[12:13], v[12:13], 0, -8
	s_cmpk_eq_i32 s54, 0x200
	s_mov_b64 s[50:51], s[52:53]
	s_mov_b64 s[52:53], s[56:57]
	s_cbranch_scc1 .LBB8_112
.LBB8_102:                              ;   Parent Loop BB8_98 Depth=1
                                        ; =>  This Inner Loop Header: Depth=2
	v_cmp_ne_u32_e32 vcc, s54, v0
	s_or_b64 s[56:57], s[8:9], vcc
	s_nor_b64 s[58:59], s[56:57], s[2:3]
	s_and_saveexec_b64 s[56:57], s[58:59]
	s_cbranch_execz .LBB8_104
; %bb.103:                              ;   in Loop: Header=BB8_102 Depth=2
	flat_load_dword v9, v[10:11]
	ds_read_b32 v16, v2
	s_waitcnt vmcnt(0) lgkmcnt(0)
	v_div_scale_f32 v17, s[58:59], v9, v9, v16
	v_rcp_f32_e32 v18, v17
	v_div_scale_f32 v19, vcc, v16, v9, v16
	v_fma_f32 v20, -v17, v18, 1.0
	v_fmac_f32_e32 v18, v20, v18
	v_mul_f32_e32 v20, v19, v18
	v_fma_f32 v21, -v17, v20, v19
	v_fmac_f32_e32 v20, v21, v18
	v_fma_f32 v17, -v17, v20, v19
	v_div_fmas_f32 v17, v17, v18, v20
	v_div_fixup_f32 v9, v17, v9, v16
	ds_write_b32 v2, v9
.LBB8_104:                              ;   in Loop: Header=BB8_102 Depth=2
	s_or_b64 exec, exec, s[56:57]
	v_cmp_lt_u32_e32 vcc, s54, v0
	s_waitcnt lgkmcnt(0)
	s_barrier
	s_and_saveexec_b64 s[56:57], vcc
	s_cbranch_execz .LBB8_107
; %bb.105:                              ;   in Loop: Header=BB8_102 Depth=2
	s_add_i32 s58, s42, s54
	s_cmp_lt_i32 s58, s13
	s_cselect_b64 s[58:59], -1, 0
	s_and_b64 s[58:59], s[44:45], s[58:59]
	s_and_b64 exec, exec, s[58:59]
	s_cbranch_execz .LBB8_107
; %bb.106:                              ;   in Loop: Header=BB8_102 Depth=2
	s_lshl_b64 s[58:59], s[46:47], 1
	s_and_b32 s58, s58, -4
	v_lshl_add_u64 v[16:17], v[12:13], 0, s[58:59]
	flat_load_dword v9, v[16:17]
	v_mov_b32_e32 v16, s33
	ds_read_b32 v16, v16
	ds_read_b32 v17, v2
	s_waitcnt vmcnt(0) lgkmcnt(0)
	v_fma_f32 v9, -v9, v16, v17
	ds_write_b32 v2, v9
.LBB8_107:                              ;   in Loop: Header=BB8_102 Depth=2
	s_or_b64 exec, exec, s[56:57]
	s_add_u32 s58, s54, 1
	v_cmp_ne_u32_e32 vcc, s58, v0
	s_addc_u32 s55, s55, 0
	s_or_b64 s[56:57], s[8:9], vcc
	s_nor_b64 s[60:61], s[56:57], s[2:3]
	s_and_saveexec_b64 s[56:57], s[60:61]
	s_cbranch_execz .LBB8_109
; %bb.108:                              ;   in Loop: Header=BB8_102 Depth=2
	flat_load_dword v9, v[10:11]
	ds_read_b32 v16, v2
	s_waitcnt vmcnt(0) lgkmcnt(0)
	v_div_scale_f32 v17, s[60:61], v9, v9, v16
	v_rcp_f32_e32 v18, v17
	v_div_scale_f32 v19, vcc, v16, v9, v16
	v_fma_f32 v20, -v17, v18, 1.0
	v_fmac_f32_e32 v18, v20, v18
	v_mul_f32_e32 v20, v19, v18
	v_fma_f32 v21, -v17, v20, v19
	v_fmac_f32_e32 v20, v21, v18
	v_fma_f32 v17, -v17, v20, v19
	v_div_fmas_f32 v17, v17, v18, v20
	v_div_fixup_f32 v9, v17, v9, v16
	ds_write_b32 v2, v9
.LBB8_109:                              ;   in Loop: Header=BB8_102 Depth=2
	s_or_b64 exec, exec, s[56:57]
	v_cmp_lt_u32_e32 vcc, s58, v0
	s_waitcnt lgkmcnt(0)
	s_barrier
	s_and_saveexec_b64 s[56:57], vcc
	s_cbranch_execz .LBB8_101
; %bb.110:                              ;   in Loop: Header=BB8_102 Depth=2
	s_add_i32 s54, s42, s54
	s_add_i32 s54, s54, 1
	s_cmp_lt_i32 s54, s13
	s_cselect_b64 s[60:61], -1, 0
	s_and_b64 s[60:61], s[44:45], s[60:61]
	s_and_b64 exec, exec, s[60:61]
	s_cbranch_execz .LBB8_101
; %bb.111:                              ;   in Loop: Header=BB8_102 Depth=2
	s_lshl_b64 s[60:61], s[48:49], 1
	s_and_b32 s60, s60, -4
	v_lshl_add_u64 v[16:17], v[14:15], 0, s[60:61]
	flat_load_dword v9, v[16:17]
	v_mov_b32_e32 v16, s33
	ds_read_b32 v16, v16 offset:4
	ds_read_b32 v17, v2
	s_waitcnt vmcnt(0) lgkmcnt(0)
	v_fma_f32 v9, -v9, v16, v17
	ds_write_b32 v2, v9
	s_branch .LBB8_101
.LBB8_112:                              ;   in Loop: Header=BB8_98 Depth=1
	s_add_u32 s2, s42, 0x200
	s_addc_u32 s3, s43, 0
	s_cmp_ge_i32 s2, s13
	s_cselect_b64 s[44:45], -1, 0
	s_and_b64 vcc, exec, s[44:45]
	s_waitcnt lgkmcnt(0)
	s_barrier
	s_cbranch_vccnz .LBB8_131
; %bb.113:                              ;   in Loop: Header=BB8_98 Depth=1
	v_ashrrev_i32_e32 v9, 31, v8
	v_lshl_add_u64 v[10:11], s[24:25], 0, v[8:9]
	v_lshl_add_u64 v[12:13], s[36:37], 0, v[8:9]
	s_mov_b32 s33, s2
	v_lshl_add_u64 v[10:11], v[10:11], 2, s[16:17]
	v_lshl_add_u64 v[12:13], v[12:13], 2, s[16:17]
	s_mov_b64 s[46:47], 0
	v_mov_b64_e32 v[14:15], v[0:1]
                                        ; implicit-def: $sgpr48_sgpr49
	s_branch .LBB8_116
.LBB8_114:                              ;   in Loop: Header=BB8_116 Depth=2
	v_mad_u64_u32 v[18:19], s[52:53], s6, v9, 0
	v_mov_b32_e32 v16, v19
	v_mad_u64_u32 v[20:21], s[52:53], s7, v9, v[16:17]
	v_mov_b32_e32 v19, v20
	v_lshl_add_u64 v[18:19], v[18:19], 2, s[4:5]
	flat_load_dword v9, v[18:19]
	s_addk_i32 s33, 0x200
	s_cmp_ge_i32 s33, s13
	s_cselect_b64 s[52:53], -1, 0
	s_andn2_b64 s[48:49], s[48:49], exec
	s_and_b64 s[52:53], s[52:53], exec
	v_lshl_add_u64 v[10:11], v[10:11], 0, s[34:35]
	v_lshl_add_u64 v[12:13], v[12:13], 0, s[34:35]
	s_or_b64 s[48:49], s[48:49], s[52:53]
	s_waitcnt vmcnt(0) lgkmcnt(0)
	v_sub_f32_e32 v9, v9, v17
	flat_store_dword v[18:19], v9
.LBB8_115:                              ;   in Loop: Header=BB8_116 Depth=2
	s_or_b64 exec, exec, s[50:51]
	s_and_b64 s[50:51], exec, s[48:49]
	s_or_b64 s[46:47], s[50:51], s[46:47]
	s_andn2_b64 exec, exec, s[46:47]
	s_cbranch_execz .LBB8_130
.LBB8_116:                              ;   Parent Loop BB8_98 Depth=1
                                        ; =>  This Loop Header: Depth=2
                                        ;       Child Loop BB8_118 Depth 3
	v_add_u32_e32 v9, s33, v0
	v_cmp_gt_i32_e32 vcc, s13, v9
	s_or_b64 s[48:49], s[48:49], exec
	s_and_saveexec_b64 s[50:51], vcc
	s_cbranch_execz .LBB8_115
; %bb.117:                              ;   in Loop: Header=BB8_116 Depth=2
	v_lshl_add_u64 v[16:17], v[14:15], 0, s[30:31]
	v_lshl_add_u64 v[14:15], v[14:15], 0, s[28:29]
	v_mov_b32_e32 v17, 0
	s_mov_b64 s[52:53], 0
	s_mov_b32 s43, 0
	s_mov_b64 s[54:55], s[26:27]
	s_mov_b64 s[58:59], s[22:23]
	v_mov_b64_e32 v[18:19], v[12:13]
	s_mov_b64 s[56:57], s[20:21]
	s_mov_b64 s[60:61], s[18:19]
	v_mov_b64_e32 v[20:21], v[10:11]
.LBB8_118:                              ;   Parent Loop BB8_98 Depth=1
                                        ;     Parent Loop BB8_116 Depth=2
                                        ; =>    This Inner Loop Header: Depth=3
	v_cmp_ne_u32_e32 vcc, s52, v14
	s_xor_b64 s[62:63], s[8:9], -1
	s_add_u32 s66, s42, s52
	s_or_b64 s[64:65], s[62:63], vcc
	s_and_saveexec_b64 s[68:69], s[64:65]
	s_xor_b64 s[64:65], exec, s[68:69]
	s_cbranch_execz .LBB8_121
; %bb.119:                              ;   in Loop: Header=BB8_118 Depth=3
	s_cmp_ge_i32 s66, s13
	s_cbranch_scc1 .LBB8_121
; %bb.120:                              ;   in Loop: Header=BB8_118 Depth=3
	s_lshl_b64 s[68:69], s[54:55], 1
	s_and_b32 s68, s68, -4
	v_lshl_add_u64 v[22:23], v[18:19], 0, s[68:69]
	flat_load_dword v22, v[22:23]
	v_mov_b32_e32 v23, s43
	ds_read_b32 v23, v23
	s_waitcnt vmcnt(0) lgkmcnt(0)
	v_fmac_f32_e32 v17, v22, v23
.LBB8_121:                              ;   in Loop: Header=BB8_118 Depth=3
	s_andn2_saveexec_b64 s[64:65], s[64:65]
	s_cbranch_execz .LBB8_123
; %bb.122:                              ;   in Loop: Header=BB8_118 Depth=3
	v_mov_b32_e32 v22, s43
	ds_read_b32 v22, v22
	s_waitcnt lgkmcnt(0)
	v_add_f32_e32 v17, v17, v22
.LBB8_123:                              ;   in Loop: Header=BB8_118 Depth=3
	s_or_b64 exec, exec, s[64:65]
	v_cmp_ne_u32_e32 vcc, s52, v16
	s_or_b64 s[62:63], s[62:63], vcc
	s_and_saveexec_b64 s[64:65], s[62:63]
	s_xor_b64 s[62:63], exec, s[64:65]
	s_cbranch_execz .LBB8_126
; %bb.124:                              ;   in Loop: Header=BB8_118 Depth=3
	s_add_i32 s66, s66, 1
	s_cmp_ge_i32 s66, s13
	s_cbranch_scc1 .LBB8_126
; %bb.125:                              ;   in Loop: Header=BB8_118 Depth=3
	s_lshl_b64 s[64:65], s[56:57], 1
	s_and_b32 s64, s64, -4
	v_lshl_add_u64 v[22:23], v[20:21], 0, s[64:65]
	flat_load_dword v22, v[22:23]
	v_mov_b32_e32 v23, s43
	ds_read_b32 v23, v23 offset:4
	s_waitcnt vmcnt(0) lgkmcnt(0)
	v_fmac_f32_e32 v17, v22, v23
.LBB8_126:                              ;   in Loop: Header=BB8_118 Depth=3
	s_andn2_saveexec_b64 s[62:63], s[62:63]
	s_cbranch_execz .LBB8_128
; %bb.127:                              ;   in Loop: Header=BB8_118 Depth=3
	v_mov_b32_e32 v22, s43
	ds_read_b32 v22, v22 offset:4
	s_waitcnt lgkmcnt(0)
	v_add_f32_e32 v17, v17, v22
.LBB8_128:                              ;   in Loop: Header=BB8_118 Depth=3
	s_or_b64 exec, exec, s[62:63]
	s_add_u32 s52, s52, 2
	s_addc_u32 s53, s53, 0
	s_add_u32 s62, s60, -8
	s_addc_u32 s63, s61, -1
	s_add_u32 s56, s56, s60
	s_addc_u32 s57, s57, s61
	s_add_i32 s43, s43, 8
	s_add_u32 s60, s58, -8
	s_addc_u32 s61, s59, -1
	s_add_u32 s54, s54, s58
	s_addc_u32 s55, s55, s59
	v_lshl_add_u64 v[20:21], v[20:21], 0, -8
	s_cmpk_eq_i32 s52, 0x200
	v_lshl_add_u64 v[18:19], v[18:19], 0, -8
	s_cbranch_scc1 .LBB8_114
; %bb.129:                              ;   in Loop: Header=BB8_118 Depth=3
	s_mov_b64 s[58:59], s[60:61]
	s_mov_b64 s[60:61], s[62:63]
	s_branch .LBB8_118
.LBB8_130:                              ;   in Loop: Header=BB8_98 Depth=1
	s_or_b64 exec, exec, s[46:47]
.LBB8_131:                              ;   in Loop: Header=BB8_98 Depth=1
	s_and_saveexec_b64 s[42:43], s[0:1]
	s_cbranch_execz .LBB8_97
; %bb.132:                              ;   in Loop: Header=BB8_98 Depth=1
	ds_read_b32 v9, v2
	v_mad_u64_u32 v[10:11], s[0:1], s6, v3, 0
	v_mov_b32_e32 v12, v11
	v_mad_u64_u32 v[12:13], s[0:1], s7, v3, v[12:13]
	v_mov_b32_e32 v11, v12
	v_lshl_add_u64 v[10:11], v[10:11], 2, s[4:5]
	s_waitcnt lgkmcnt(0)
	flat_store_dword v[10:11], v9
	s_branch .LBB8_97
.LBB8_133:
	s_mov_b64 s[0:1], 0
.LBB8_134:
	s_andn2_b64 vcc, exec, s[0:1]
	s_cbranch_vccnz .LBB8_180
; %bb.135:
	s_andn2_b64 vcc, exec, s[14:15]
	s_cbranch_vccnz .LBB8_180
; %bb.136:
	v_mov_b32_e32 v1, 0x1000
	v_mov_b32_e32 v3, 0
	s_movk_i32 s26, 0xfe00
	s_add_i32 s45, s13, 0xfffffe00
	v_lshl_or_b32 v24, v0, 2, v1
	v_add_u32_e32 v25, 0xfffffe01, v0
	s_mov_b32 s33, 0
	s_mov_b32 s44, s13
	v_mov_b32_e32 v1, v3
	s_mov_b64 s[12:13], 0xfffffdfd
	s_mov_b64 s[14:15], 0xfffffdfe
	;; [unrolled: 1-line block ×4, first 2 shown]
	s_xor_b64 s[20:21], s[8:9], -1
	s_mov_b64 s[22:23], 0xfffffe02
	s_mov_b64 s[24:25], 0xfffffe03
	s_mov_b32 s27, -1
	s_branch .LBB8_138
.LBB8_137:                              ;   in Loop: Header=BB8_138 Depth=1
	s_or_b64 exec, exec, s[28:29]
	s_add_u32 s44, s44, 0xfffffe00
	s_addc_u32 s33, s33, -1
	s_and_b64 vcc, exec, s[2:3]
	s_mov_b32 s45, s46
	s_waitcnt lgkmcnt(0)
	s_barrier
	s_cbranch_vccnz .LBB8_180
.LBB8_138:                              ; =>This Loop Header: Depth=1
                                        ;     Child Loop BB8_143 Depth 2
                                        ;     Child Loop BB8_158 Depth 2
                                        ;       Child Loop BB8_161 Depth 3
	v_add_u32_e32 v4, s45, v0
	v_cmp_gt_i32_e32 vcc, 0, v4
	v_cmp_lt_i32_e64 s[0:1], -1, v4
	v_mov_b32_e32 v5, v3
	s_and_saveexec_b64 s[2:3], s[0:1]
	s_cbranch_execz .LBB8_140
; %bb.139:                              ;   in Loop: Header=BB8_138 Depth=1
	v_mad_u64_u32 v[6:7], s[28:29], s6, v4, 0
	v_mov_b32_e32 v2, v7
	v_mad_u64_u32 v[8:9], s[28:29], s7, v4, v[2:3]
	v_mov_b32_e32 v7, v8
	v_lshl_add_u64 v[6:7], v[6:7], 2, s[4:5]
	flat_load_dword v2, v[6:7]
	s_waitcnt vmcnt(0) lgkmcnt(0)
	ds_write_b32 v24, v2
.LBB8_140:                              ;   in Loop: Header=BB8_138 Depth=1
	s_or_b64 exec, exec, s[2:3]
	v_add_u32_e32 v2, 1, v4
	v_mad_u64_u32 v[8:9], s[2:3], v4, v2, 0
	v_lshlrev_b64 v[8:9], 1, v[8:9]
	v_ashrrev_i32_e32 v7, 31, v4
	v_mov_b32_e32 v6, v4
	v_lshl_add_u64 v[10:11], v[4:5], 2, s[10:11]
	v_and_b32_e32 v8, -4, v8
	s_or_b64 s[2:3], s[8:9], vcc
	v_lshl_add_u64 v[6:7], v[6:7], 2, s[10:11]
	v_lshl_add_u64 v[8:9], v[10:11], 0, v[8:9]
	s_movk_i32 s34, 0x1ff
	s_movk_i32 s35, 0x17f8
	v_mov_b32_e32 v5, s44
	s_xor_b64 s[28:29], s[2:3], -1
	v_mov_b32_e32 v2, v25
	s_waitcnt lgkmcnt(0)
	s_barrier
	s_branch .LBB8_143
.LBB8_141:                              ;   in Loop: Header=BB8_143 Depth=2
	s_or_b64 exec, exec, s[30:31]
	v_mov_b32_e32 v5, v11
.LBB8_142:                              ;   in Loop: Header=BB8_143 Depth=2
	s_or_b64 exec, exec, s[2:3]
	s_add_i32 s34, s34, -2
	s_add_i32 s35, s35, -8
	s_cmp_eq_u32 s36, 0
	v_add_u32_e32 v2, 2, v2
	s_cbranch_scc1 .LBB8_154
.LBB8_143:                              ;   Parent Loop BB8_138 Depth=1
                                        ; =>  This Inner Loop Header: Depth=2
	v_cmp_eq_u32_e32 vcc, 0, v2
	s_and_b64 s[30:31], vcc, s[28:29]
	s_and_saveexec_b64 s[2:3], s[30:31]
	s_cbranch_execz .LBB8_145
; %bb.144:                              ;   in Loop: Header=BB8_143 Depth=2
	flat_load_dword v10, v[8:9]
	ds_read_b32 v11, v24
	s_waitcnt vmcnt(0) lgkmcnt(0)
	v_div_scale_f32 v12, s[30:31], v10, v10, v11
	v_rcp_f32_e32 v13, v12
	v_div_scale_f32 v14, vcc, v11, v10, v11
	v_fma_f32 v15, -v12, v13, 1.0
	v_fmac_f32_e32 v13, v15, v13
	v_mul_f32_e32 v15, v14, v13
	v_fma_f32 v16, -v12, v15, v14
	v_fmac_f32_e32 v15, v16, v13
	v_fma_f32 v12, -v12, v15, v14
	v_div_fmas_f32 v12, v12, v13, v15
	v_div_fixup_f32 v10, v12, v10, v11
	ds_write_b32 v24, v10
.LBB8_145:                              ;   in Loop: Header=BB8_143 Depth=2
	s_or_b64 exec, exec, s[2:3]
	v_add_u32_e32 v10, -1, v5
	v_or_b32_e32 v11, v4, v10
	v_cmp_gt_u32_e32 vcc, s34, v0
	v_cmp_lt_i32_e64 s[2:3], -1, v11
	s_and_b64 s[30:31], vcc, s[2:3]
	s_waitcnt lgkmcnt(0)
	s_barrier
	s_and_saveexec_b64 s[2:3], s[30:31]
	s_cbranch_execz .LBB8_147
; %bb.146:                              ;   in Loop: Header=BB8_143 Depth=2
	v_mad_u64_u32 v[12:13], s[30:31], v5, v10, 0
	v_lshlrev_b64 v[12:13], 1, v[12:13]
	v_and_b32_e32 v12, -4, v12
	v_lshl_add_u64 v[12:13], v[6:7], 0, v[12:13]
	flat_load_dword v11, v[12:13]
	v_mov_b32_e32 v12, s35
	ds_read_b32 v12, v12 offset:4
	ds_read_b32 v13, v24
	s_waitcnt vmcnt(0) lgkmcnt(0)
	v_fma_f32 v11, -v11, v12, v13
	ds_write_b32 v24, v11
.LBB8_147:                              ;   in Loop: Header=BB8_143 Depth=2
	s_or_b64 exec, exec, s[2:3]
	s_add_i32 s36, s34, -1
	v_cmp_eq_u32_e32 vcc, s36, v0
	s_and_b64 s[30:31], vcc, s[28:29]
	s_and_saveexec_b64 s[2:3], s[30:31]
	s_cbranch_execz .LBB8_149
; %bb.148:                              ;   in Loop: Header=BB8_143 Depth=2
	flat_load_dword v11, v[8:9]
	ds_read_b32 v12, v24
	s_waitcnt vmcnt(0) lgkmcnt(0)
	v_div_scale_f32 v13, s[30:31], v11, v11, v12
	v_rcp_f32_e32 v14, v13
	v_div_scale_f32 v15, vcc, v12, v11, v12
	v_fma_f32 v16, -v13, v14, 1.0
	v_fmac_f32_e32 v14, v16, v14
	v_mul_f32_e32 v16, v15, v14
	v_fma_f32 v17, -v13, v16, v15
	v_fmac_f32_e32 v16, v17, v14
	v_fma_f32 v13, -v13, v16, v15
	v_div_fmas_f32 v13, v13, v14, v16
	v_div_fixup_f32 v11, v13, v11, v12
	ds_write_b32 v24, v11
.LBB8_149:                              ;   in Loop: Header=BB8_143 Depth=2
	s_or_b64 exec, exec, s[2:3]
	v_cmp_le_u32_e32 vcc, s36, v0
	v_add_u32_e32 v11, -2, v5
	s_waitcnt lgkmcnt(0)
	s_barrier
	s_and_saveexec_b64 s[2:3], vcc
	s_xor_b64 s[2:3], exec, s[2:3]
; %bb.150:                              ;   in Loop: Header=BB8_143 Depth=2
	v_add_u32_e32 v5, -2, v5
                                        ; implicit-def: $vgpr11
                                        ; implicit-def: $vgpr10
; %bb.151:                              ;   in Loop: Header=BB8_143 Depth=2
	s_andn2_saveexec_b64 s[2:3], s[2:3]
	s_cbranch_execz .LBB8_142
; %bb.152:                              ;   in Loop: Header=BB8_143 Depth=2
	v_or_b32_e32 v5, v4, v11
	v_cmp_lt_i32_e32 vcc, -1, v5
	s_and_saveexec_b64 s[30:31], vcc
	s_cbranch_execz .LBB8_141
; %bb.153:                              ;   in Loop: Header=BB8_143 Depth=2
	v_mad_u64_u32 v[12:13], s[38:39], v10, v11, 0
	v_lshlrev_b64 v[12:13], 1, v[12:13]
	v_and_b32_e32 v12, -4, v12
	v_lshl_add_u64 v[12:13], v[6:7], 0, v[12:13]
	flat_load_dword v5, v[12:13]
	v_mov_b32_e32 v10, s35
	ds_read_b32 v10, v10
	ds_read_b32 v12, v24
	s_waitcnt vmcnt(0) lgkmcnt(0)
	v_fma_f32 v5, -v5, v10, v12
	ds_write_b32 v24, v5
	s_branch .LBB8_141
.LBB8_154:                              ;   in Loop: Header=BB8_138 Depth=1
	s_add_i32 s46, s45, 0xfffffe00
	s_cmp_lt_i32 s45, 1
	s_cselect_b64 s[2:3], -1, 0
	s_and_b64 vcc, exec, s[2:3]
	s_waitcnt lgkmcnt(0)
	s_barrier
	s_cbranch_vccnz .LBB8_178
; %bb.155:                              ;   in Loop: Header=BB8_138 Depth=1
	s_mov_b64 s[28:29], 0
	v_mov_b64_e32 v[6:7], v[0:1]
	s_mov_b32 s47, s46
                                        ; implicit-def: $sgpr30_sgpr31
	s_branch .LBB8_158
.LBB8_156:                              ;   in Loop: Header=BB8_158 Depth=2
	v_mad_u64_u32 v[8:9], s[36:37], s6, v2, 0
	v_mov_b32_e32 v10, v9
	v_mad_u64_u32 v[10:11], s[36:37], s7, v2, v[10:11]
	v_mov_b32_e32 v9, v10
	v_lshl_add_u64 v[8:9], v[8:9], 2, s[4:5]
	flat_load_dword v2, v[8:9]
	s_add_i32 s38, s47, 0xfffffe00
	s_cmp_lt_i32 s47, 1
	s_cselect_b64 s[36:37], -1, 0
	s_andn2_b64 s[30:31], s[30:31], exec
	s_and_b64 s[36:37], s[36:37], exec
	v_lshl_add_u64 v[6:7], v[6:7], 0, s[26:27]
	s_or_b64 s[30:31], s[30:31], s[36:37]
	s_mov_b32 s47, s38
	s_waitcnt vmcnt(0) lgkmcnt(0)
	v_sub_f32_e32 v2, v2, v5
	flat_store_dword v[8:9], v2
.LBB8_157:                              ;   in Loop: Header=BB8_158 Depth=2
	s_or_b64 exec, exec, s[34:35]
	s_and_b64 s[34:35], exec, s[30:31]
	s_or_b64 s[28:29], s[34:35], s[28:29]
	s_andn2_b64 exec, exec, s[28:29]
	s_cbranch_execz .LBB8_177
.LBB8_158:                              ;   Parent Loop BB8_138 Depth=1
                                        ; =>  This Loop Header: Depth=2
                                        ;       Child Loop BB8_161 Depth 3
	v_add_u32_e32 v2, s47, v0
	v_cmp_lt_i32_e32 vcc, -1, v2
	s_or_b64 s[30:31], s[30:31], exec
	s_and_saveexec_b64 s[34:35], vcc
	s_cbranch_execz .LBB8_157
; %bb.159:                              ;   in Loop: Header=BB8_158 Depth=2
	v_lshl_add_u64 v[8:9], v[2:3], 2, s[10:11]
	v_lshl_add_u64 v[10:11], v[6:7], 0, s[12:13]
	v_lshl_add_u64 v[12:13], v[6:7], 0, s[14:15]
	v_lshl_add_u64 v[14:15], v[6:7], 0, s[16:17]
	v_lshl_add_u64 v[16:17], v[6:7], 0, s[18:19]
	v_mov_b32_e32 v5, 0
	s_movk_i32 s48, 0x1000
	s_mov_b64 s[36:37], 0
	s_branch .LBB8_161
.LBB8_160:                              ;   in Loop: Header=BB8_161 Depth=3
	s_or_b64 exec, exec, s[38:39]
	s_waitcnt lgkmcnt(0)
	v_add_f32_e32 v5, v5, v11
	s_add_i32 s48, s48, 16
	v_add_f32_e32 v5, v5, v13
	s_add_u32 s36, s36, 4
	v_add_f32_e32 v5, v5, v15
	s_addc_u32 s37, s37, 0
	s_cmpk_eq_i32 s36, 0x200
	v_add_f32_e32 v5, v5, v17
	s_cbranch_scc1 .LBB8_156
.LBB8_161:                              ;   Parent Loop BB8_138 Depth=1
                                        ;     Parent Loop BB8_158 Depth=2
                                        ; =>    This Inner Loop Header: Depth=3
	v_cmp_ne_u32_e32 vcc, s36, v16
	s_or_b64 s[42:43], s[20:21], vcc
                                        ; implicit-def: $vgpr11
                                        ; implicit-def: $sgpr38_sgpr39
                                        ; implicit-def: $sgpr40_sgpr41
	s_and_saveexec_b64 s[50:51], s[42:43]
	s_xor_b64 s[42:43], exec, s[50:51]
	s_cbranch_execz .LBB8_163
; %bb.162:                              ;   in Loop: Header=BB8_161 Depth=3
	s_add_u32 s38, s44, s36
	s_addc_u32 s39, s33, s37
	s_add_u32 s40, s38, 0xfffffe01
	s_addc_u32 s41, s39, 0
	;; [unrolled: 2-line block ×3, first 2 shown]
	s_mul_i32 s50, s40, s50
	s_mul_hi_u32 s51, s40, s49
	s_add_i32 s51, s51, s50
	s_mul_i32 s50, s40, s49
	s_lshl_b64 s[50:51], s[50:51], 1
	s_and_b32 s50, s50, -4
	v_lshl_add_u64 v[18:19], v[8:9], 0, s[50:51]
	flat_load_dword v11, v[18:19]
	v_mov_b32_e32 v13, s48
	ds_read_b32 v13, v13
	s_waitcnt vmcnt(0) lgkmcnt(0)
	v_mul_f32_e32 v11, v11, v13
.LBB8_163:                              ;   in Loop: Header=BB8_161 Depth=3
	s_or_saveexec_b64 s[42:43], s[42:43]
	v_mov_b64_e32 v[22:23], s[40:41]
	v_mov_b64_e32 v[18:19], s[38:39]
	s_xor_b64 exec, exec, s[42:43]
	s_cbranch_execz .LBB8_165
; %bb.164:                              ;   in Loop: Header=BB8_161 Depth=3
	v_mov_b32_e32 v11, s48
	ds_read_b32 v11, v11
	s_add_u32 s38, s44, s36
	s_addc_u32 s39, s33, s37
	s_add_u32 s40, s38, 0xfffffe01
	s_addc_u32 s41, s39, 0
	v_mov_b64_e32 v[22:23], s[40:41]
	v_mov_b64_e32 v[18:19], s[38:39]
.LBB8_165:                              ;   in Loop: Header=BB8_161 Depth=3
	s_or_b64 exec, exec, s[42:43]
	v_cmp_ne_u32_e32 vcc, s36, v14
	s_or_b64 s[38:39], s[20:21], vcc
	v_lshl_add_u64 v[20:21], v[18:19], 0, s[22:23]
                                        ; implicit-def: $vgpr13
	s_and_saveexec_b64 s[40:41], s[38:39]
	s_xor_b64 s[38:39], exec, s[40:41]
	s_cbranch_execz .LBB8_167
; %bb.166:                              ;   in Loop: Header=BB8_161 Depth=3
	v_lshl_add_u64 v[20:21], v[18:19], 0, s[22:23]
	v_mad_u64_u32 v[22:23], s[40:41], v20, v22, 0
	v_lshlrev_b64 v[22:23], 1, v[22:23]
	v_and_b32_e32 v22, -4, v22
	v_lshl_add_u64 v[22:23], v[8:9], 0, v[22:23]
	flat_load_dword v13, v[22:23]
	v_mov_b32_e32 v15, s48
	ds_read_b32 v15, v15 offset:4
	s_waitcnt vmcnt(0) lgkmcnt(0)
	v_mul_f32_e32 v13, v13, v15
.LBB8_167:                              ;   in Loop: Header=BB8_161 Depth=3
	s_andn2_saveexec_b64 s[38:39], s[38:39]
; %bb.168:                              ;   in Loop: Header=BB8_161 Depth=3
	v_mov_b32_e32 v13, s48
	ds_read_b32 v13, v13 offset:4
; %bb.169:                              ;   in Loop: Header=BB8_161 Depth=3
	s_or_b64 exec, exec, s[38:39]
	v_cmp_ne_u32_e32 vcc, s36, v12
	s_or_b64 s[38:39], s[20:21], vcc
	v_lshl_add_u64 v[22:23], v[18:19], 0, s[24:25]
                                        ; implicit-def: $vgpr15
	s_and_saveexec_b64 s[40:41], s[38:39]
	s_xor_b64 s[38:39], exec, s[40:41]
	s_cbranch_execz .LBB8_171
; %bb.170:                              ;   in Loop: Header=BB8_161 Depth=3
	v_lshl_add_u64 v[22:23], v[18:19], 0, s[24:25]
	v_mad_u64_u32 v[20:21], s[40:41], v22, v20, 0
	v_lshlrev_b64 v[20:21], 1, v[20:21]
	v_and_b32_e32 v20, -4, v20
	v_lshl_add_u64 v[20:21], v[8:9], 0, v[20:21]
	flat_load_dword v15, v[20:21]
	v_mov_b32_e32 v17, s48
	ds_read_b32 v17, v17 offset:8
	s_waitcnt vmcnt(0) lgkmcnt(0)
	v_mul_f32_e32 v15, v15, v17
.LBB8_171:                              ;   in Loop: Header=BB8_161 Depth=3
	s_andn2_saveexec_b64 s[38:39], s[38:39]
; %bb.172:                              ;   in Loop: Header=BB8_161 Depth=3
	v_mov_b32_e32 v15, s48
	ds_read_b32 v15, v15 offset:8
; %bb.173:                              ;   in Loop: Header=BB8_161 Depth=3
	s_or_b64 exec, exec, s[38:39]
	v_cmp_ne_u32_e32 vcc, s36, v10
	s_or_b64 s[38:39], s[20:21], vcc
                                        ; implicit-def: $vgpr17
	s_and_saveexec_b64 s[40:41], s[38:39]
	s_xor_b64 s[38:39], exec, s[40:41]
	s_cbranch_execz .LBB8_175
; %bb.174:                              ;   in Loop: Header=BB8_161 Depth=3
	v_add_u32_e32 v17, 0xfffffe04, v18
	v_mad_u64_u32 v[18:19], s[40:41], v17, v22, 0
	v_lshlrev_b64 v[18:19], 1, v[18:19]
	v_and_b32_e32 v18, -4, v18
	v_lshl_add_u64 v[18:19], v[8:9], 0, v[18:19]
	flat_load_dword v17, v[18:19]
	v_mov_b32_e32 v18, s48
	ds_read_b32 v18, v18 offset:12
	s_waitcnt vmcnt(0) lgkmcnt(0)
	v_mul_f32_e32 v17, v17, v18
.LBB8_175:                              ;   in Loop: Header=BB8_161 Depth=3
	s_andn2_saveexec_b64 s[38:39], s[38:39]
	s_cbranch_execz .LBB8_160
; %bb.176:                              ;   in Loop: Header=BB8_161 Depth=3
	v_mov_b32_e32 v17, s48
	ds_read_b32 v17, v17 offset:12
	s_branch .LBB8_160
.LBB8_177:                              ;   in Loop: Header=BB8_138 Depth=1
	s_or_b64 exec, exec, s[28:29]
.LBB8_178:                              ;   in Loop: Header=BB8_138 Depth=1
	s_and_saveexec_b64 s[28:29], s[0:1]
	s_cbranch_execz .LBB8_137
; %bb.179:                              ;   in Loop: Header=BB8_138 Depth=1
	ds_read_b32 v8, v24
	v_mad_u64_u32 v[6:7], s[0:1], s6, v4, 0
	v_mov_b32_e32 v2, v7
	v_mad_u64_u32 v[4:5], s[0:1], s7, v4, v[2:3]
	v_mov_b32_e32 v7, v4
	v_lshl_add_u64 v[4:5], v[6:7], 2, s[4:5]
	s_waitcnt lgkmcnt(0)
	flat_store_dword v[4:5], v8
	s_branch .LBB8_137
.LBB8_180:
	s_endpgm
	.section	.rodata,"a",@progbits
	.p2align	6, 0x0
	.amdhsa_kernel _ZL19rocblas_tpsv_kernelILb1ELi512EPKPKfPKPfEv18rocblas_operation_bbiT1_llT2_lll
		.amdhsa_group_segment_fixed_size 8192
		.amdhsa_private_segment_fixed_size 0
		.amdhsa_kernarg_size 72
		.amdhsa_user_sgpr_count 2
		.amdhsa_user_sgpr_dispatch_ptr 0
		.amdhsa_user_sgpr_queue_ptr 0
		.amdhsa_user_sgpr_kernarg_segment_ptr 1
		.amdhsa_user_sgpr_dispatch_id 0
		.amdhsa_user_sgpr_kernarg_preload_length 0
		.amdhsa_user_sgpr_kernarg_preload_offset 0
		.amdhsa_user_sgpr_private_segment_size 0
		.amdhsa_uses_dynamic_stack 0
		.amdhsa_enable_private_segment 0
		.amdhsa_system_sgpr_workgroup_id_x 1
		.amdhsa_system_sgpr_workgroup_id_y 0
		.amdhsa_system_sgpr_workgroup_id_z 0
		.amdhsa_system_sgpr_workgroup_info 0
		.amdhsa_system_vgpr_workitem_id 0
		.amdhsa_next_free_vgpr 26
		.amdhsa_next_free_sgpr 70
		.amdhsa_accum_offset 28
		.amdhsa_reserve_vcc 1
		.amdhsa_float_round_mode_32 0
		.amdhsa_float_round_mode_16_64 0
		.amdhsa_float_denorm_mode_32 3
		.amdhsa_float_denorm_mode_16_64 3
		.amdhsa_dx10_clamp 1
		.amdhsa_ieee_mode 1
		.amdhsa_fp16_overflow 0
		.amdhsa_tg_split 0
		.amdhsa_exception_fp_ieee_invalid_op 0
		.amdhsa_exception_fp_denorm_src 0
		.amdhsa_exception_fp_ieee_div_zero 0
		.amdhsa_exception_fp_ieee_overflow 0
		.amdhsa_exception_fp_ieee_underflow 0
		.amdhsa_exception_fp_ieee_inexact 0
		.amdhsa_exception_int_div_zero 0
	.end_amdhsa_kernel
	.section	.text._ZL19rocblas_tpsv_kernelILb1ELi512EPKPKfPKPfEv18rocblas_operation_bbiT1_llT2_lll,"axG",@progbits,_ZL19rocblas_tpsv_kernelILb1ELi512EPKPKfPKPfEv18rocblas_operation_bbiT1_llT2_lll,comdat
.Lfunc_end8:
	.size	_ZL19rocblas_tpsv_kernelILb1ELi512EPKPKfPKPfEv18rocblas_operation_bbiT1_llT2_lll, .Lfunc_end8-_ZL19rocblas_tpsv_kernelILb1ELi512EPKPKfPKPfEv18rocblas_operation_bbiT1_llT2_lll
                                        ; -- End function
	.set _ZL19rocblas_tpsv_kernelILb1ELi512EPKPKfPKPfEv18rocblas_operation_bbiT1_llT2_lll.num_vgpr, 26
	.set _ZL19rocblas_tpsv_kernelILb1ELi512EPKPKfPKPfEv18rocblas_operation_bbiT1_llT2_lll.num_agpr, 0
	.set _ZL19rocblas_tpsv_kernelILb1ELi512EPKPKfPKPfEv18rocblas_operation_bbiT1_llT2_lll.numbered_sgpr, 70
	.set _ZL19rocblas_tpsv_kernelILb1ELi512EPKPKfPKPfEv18rocblas_operation_bbiT1_llT2_lll.num_named_barrier, 0
	.set _ZL19rocblas_tpsv_kernelILb1ELi512EPKPKfPKPfEv18rocblas_operation_bbiT1_llT2_lll.private_seg_size, 0
	.set _ZL19rocblas_tpsv_kernelILb1ELi512EPKPKfPKPfEv18rocblas_operation_bbiT1_llT2_lll.uses_vcc, 1
	.set _ZL19rocblas_tpsv_kernelILb1ELi512EPKPKfPKPfEv18rocblas_operation_bbiT1_llT2_lll.uses_flat_scratch, 0
	.set _ZL19rocblas_tpsv_kernelILb1ELi512EPKPKfPKPfEv18rocblas_operation_bbiT1_llT2_lll.has_dyn_sized_stack, 0
	.set _ZL19rocblas_tpsv_kernelILb1ELi512EPKPKfPKPfEv18rocblas_operation_bbiT1_llT2_lll.has_recursion, 0
	.set _ZL19rocblas_tpsv_kernelILb1ELi512EPKPKfPKPfEv18rocblas_operation_bbiT1_llT2_lll.has_indirect_call, 0
	.section	.AMDGPU.csdata,"",@progbits
; Kernel info:
; codeLenInByte = 6820
; TotalNumSgprs: 76
; NumVgprs: 26
; NumAgprs: 0
; TotalNumVgprs: 26
; ScratchSize: 0
; MemoryBound: 0
; FloatMode: 240
; IeeeMode: 1
; LDSByteSize: 8192 bytes/workgroup (compile time only)
; SGPRBlocks: 9
; VGPRBlocks: 3
; NumSGPRsForWavesPerEU: 76
; NumVGPRsForWavesPerEU: 26
; AccumOffset: 28
; Occupancy: 8
; WaveLimiterHint : 1
; COMPUTE_PGM_RSRC2:SCRATCH_EN: 0
; COMPUTE_PGM_RSRC2:USER_SGPR: 2
; COMPUTE_PGM_RSRC2:TRAP_HANDLER: 0
; COMPUTE_PGM_RSRC2:TGID_X_EN: 1
; COMPUTE_PGM_RSRC2:TGID_Y_EN: 0
; COMPUTE_PGM_RSRC2:TGID_Z_EN: 0
; COMPUTE_PGM_RSRC2:TIDIG_COMP_CNT: 0
; COMPUTE_PGM_RSRC3_GFX90A:ACCUM_OFFSET: 6
; COMPUTE_PGM_RSRC3_GFX90A:TG_SPLIT: 0
	.section	.text._ZL19rocblas_tpsv_kernelILb0ELi512EPKPKfPKPfEv18rocblas_operation_bbiT1_llT2_lll,"axG",@progbits,_ZL19rocblas_tpsv_kernelILb0ELi512EPKPKfPKPfEv18rocblas_operation_bbiT1_llT2_lll,comdat
	.globl	_ZL19rocblas_tpsv_kernelILb0ELi512EPKPKfPKPfEv18rocblas_operation_bbiT1_llT2_lll ; -- Begin function _ZL19rocblas_tpsv_kernelILb0ELi512EPKPKfPKPfEv18rocblas_operation_bbiT1_llT2_lll
	.p2align	8
	.type	_ZL19rocblas_tpsv_kernelILb0ELi512EPKPKfPKPfEv18rocblas_operation_bbiT1_llT2_lll,@function
_ZL19rocblas_tpsv_kernelILb0ELi512EPKPKfPKPfEv18rocblas_operation_bbiT1_llT2_lll: ; @_ZL19rocblas_tpsv_kernelILb0ELi512EPKPKfPKPfEv18rocblas_operation_bbiT1_llT2_lll
; %bb.0:
	s_load_dwordx2 s[28:29], s[0:1], 0x0
	s_load_dwordx2 s[14:15], s[0:1], 0x4
	s_load_dwordx4 s[24:27], s[0:1], 0x10
	s_load_dwordx2 s[12:13], s[0:1], 0x28
	s_mov_b32 s3, 0
	s_waitcnt lgkmcnt(0)
	s_bitcmp1_b32 s29, 0
	s_cselect_b64 s[4:5], -1, 0
	s_xor_b64 s[22:23], s[4:5], -1
	s_bitcmp1_b32 s14, 8
	s_cselect_b64 s[8:9], -1, 0
	s_lshl_b64 s[2:3], s[2:3], 3
	s_add_u32 s10, s24, s2
	s_addc_u32 s11, s25, s3
	s_load_dwordx2 s[18:19], s[10:11], 0x0
	s_load_dwordx4 s[4:7], s[0:1], 0x30
	s_lshl_b64 s[20:21], s[26:27], 2
	s_waitcnt lgkmcnt(0)
	s_add_u32 s10, s18, s20
	s_addc_u32 s11, s19, s21
	s_add_u32 s0, s12, s2
	s_addc_u32 s1, s13, s3
	s_load_dwordx2 s[0:1], s[0:1], 0x0
	s_lshl_b64 s[2:3], s[4:5], 2
	s_waitcnt lgkmcnt(0)
	s_add_u32 s12, s0, s2
	s_addc_u32 s13, s1, s3
	s_cmp_gt_i32 s15, 0
	s_cselect_b64 s[16:17], -1, 0
	s_cmpk_lg_i32 s28, 0x6f
	s_mov_b64 s[0:1], -1
	s_cbranch_scc0 .LBB9_93
; %bb.1:
	s_and_b64 vcc, exec, s[22:23]
	s_cbranch_vccz .LBB9_44
; %bb.2:
	s_andn2_b64 vcc, exec, s[16:17]
	s_cbranch_vccnz .LBB9_43
; %bb.3:
	s_lshl_b32 s2, s15, 1
	s_ashr_i32 s1, s15, 31
	s_mov_b32 s0, s15
	s_add_i32 s34, s15, 0xfffffe00
	s_or_b32 s14, s2, 1
	s_lshl_b64 s[0:1], s[0:1], 2
	s_add_u32 s0, s20, s0
	s_addc_u32 s1, s21, s1
	s_add_u32 s0, s18, s0
	s_addc_u32 s1, s19, s1
	v_mov_b32_e32 v1, 0x800
	s_add_u32 s4, s0, 0xfffff800
	v_add_u32_e32 v2, s15, v0
	v_lshl_or_b32 v1, v0, 2, v1
	v_xor_b32_e32 v10, 0x1ff, v0
	s_addc_u32 s5, s1, -1
	v_add_u32_e32 v11, 0xfffffc00, v2
	s_ashr_i32 s33, s2, 31
	v_mov_b32_e32 v3, 0
	s_movk_i32 s40, 0x400
	s_movk_i32 s41, 0x401
	;; [unrolled: 1-line block ×4, first 2 shown]
	s_mov_b64 s[24:25], 0x800
	s_mov_b64 s[26:27], 0x200
	s_branch .LBB9_5
.LBB9_4:                                ;   in Loop: Header=BB9_5 Depth=1
	s_or_b64 exec, exec, s[28:29]
	s_add_u32 s4, s4, 0xfffff800
	s_addc_u32 s5, s5, -1
	v_add_u32_e32 v11, 0xfffffe00, v11
	s_andn2_b64 vcc, exec, s[2:3]
	s_mov_b32 s34, s44
	s_waitcnt lgkmcnt(0)
	s_barrier
	s_cbranch_vccz .LBB9_43
.LBB9_5:                                ; =>This Loop Header: Depth=1
                                        ;     Child Loop BB9_9 Depth 2
                                        ;     Child Loop BB9_21 Depth 2
                                        ;       Child Loop BB9_24 Depth 3
	v_add_u32_e32 v12, s34, v0
	v_cmp_gt_i32_e64 s[2:3], 0, v12
	v_cmp_lt_i32_e64 s[0:1], -1, v12
	s_and_saveexec_b64 s[28:29], s[0:1]
	s_cbranch_execz .LBB9_7
; %bb.6:                                ;   in Loop: Header=BB9_5 Depth=1
	v_mad_u64_u32 v[4:5], s[30:31], s6, v12, 0
	v_mov_b32_e32 v2, v5
	v_mad_u64_u32 v[6:7], s[30:31], s7, v12, v[2:3]
	v_mov_b32_e32 v5, v6
	v_lshl_add_u64 v[4:5], v[4:5], 2, s[12:13]
	flat_load_dword v2, v[4:5]
	s_waitcnt vmcnt(0) lgkmcnt(0)
	ds_write_b32 v1, v2
.LBB9_7:                                ;   in Loop: Header=BB9_5 Depth=1
	s_or_b64 exec, exec, s[28:29]
	v_sub_u32_e32 v2, s14, v12
	v_mad_u64_u32 v[4:5], s[28:29], v12, v2, 0
	v_ashrrev_i32_e32 v6, 31, v2
	v_mov_b32_e32 v2, v5
	v_mad_u64_u32 v[6:7], s[28:29], v12, v6, v[2:3]
	v_mov_b32_e32 v5, v6
	v_lshlrev_b64 v[4:5], 1, v[4:5]
	v_and_b32_e32 v4, -4, v4
	s_or_b64 s[28:29], s[8:9], s[2:3]
	s_not_b32 s35, s34
	v_lshl_add_u64 v[4:5], s[10:11], 0, v[4:5]
	s_movk_i32 s36, 0x1ff
	s_movk_i32 s37, 0xff8
	s_xor_b64 s[28:29], s[28:29], -1
	v_mov_b32_e32 v2, v10
	s_waitcnt lgkmcnt(0)
	s_barrier
	s_branch .LBB9_9
.LBB9_8:                                ;   in Loop: Header=BB9_9 Depth=2
	s_or_b64 exec, exec, s[30:31]
	s_add_i32 s36, s36, -2
	s_add_i32 s37, s37, -8
	s_cmp_eq_u32 s38, 0
	v_add_u32_e32 v2, -2, v2
	s_cbranch_scc1 .LBB9_17
.LBB9_9:                                ;   Parent Loop BB9_5 Depth=1
                                        ; =>  This Inner Loop Header: Depth=2
	v_cmp_eq_u32_e32 vcc, 0, v2
	s_and_b64 s[38:39], vcc, s[28:29]
	s_and_saveexec_b64 s[30:31], s[38:39]
	s_cbranch_execz .LBB9_11
; %bb.10:                               ;   in Loop: Header=BB9_9 Depth=2
	flat_load_dword v6, v[4:5]
	ds_read_b32 v7, v1
	s_waitcnt vmcnt(0) lgkmcnt(0)
	v_div_scale_f32 v8, s[38:39], v6, v6, v7
	v_rcp_f32_e32 v9, v8
	v_div_scale_f32 v13, vcc, v7, v6, v7
	v_fma_f32 v14, -v8, v9, 1.0
	v_fmac_f32_e32 v9, v14, v9
	v_mul_f32_e32 v14, v13, v9
	v_fma_f32 v15, -v8, v14, v13
	v_fmac_f32_e32 v14, v15, v9
	v_fma_f32 v8, -v8, v14, v13
	v_div_fmas_f32 v8, v8, v9, v14
	v_div_fixup_f32 v6, v8, v6, v7
	ds_write_b32 v1, v6
.LBB9_11:                               ;   in Loop: Header=BB9_9 Depth=2
	s_or_b64 exec, exec, s[30:31]
	s_cmp_le_i32 s36, s35
	v_cmp_le_u32_e32 vcc, s36, v0
	s_cselect_b64 s[30:31], -1, 0
	s_or_b64 s[30:31], vcc, s[30:31]
	s_nor_b64 s[38:39], s[2:3], s[30:31]
	s_waitcnt lgkmcnt(0)
	s_barrier
	s_and_saveexec_b64 s[30:31], s[38:39]
	s_cbranch_execz .LBB9_13
; %bb.12:                               ;   in Loop: Header=BB9_9 Depth=2
	v_lshl_add_u64 v[6:7], v[2:3], 2, v[4:5]
	flat_load_dword v6, v[6:7]
	v_mov_b32_e32 v7, s37
	ds_read_b32 v7, v7 offset:4
	ds_read_b32 v8, v1
	s_waitcnt vmcnt(0) lgkmcnt(0)
	v_fma_f32 v6, -v6, v7, v8
	ds_write_b32 v1, v6
.LBB9_13:                               ;   in Loop: Header=BB9_9 Depth=2
	s_or_b64 exec, exec, s[30:31]
	s_add_i32 s38, s36, -1
	v_cmp_eq_u32_e32 vcc, s38, v0
	s_and_b64 s[44:45], vcc, s[28:29]
	s_and_saveexec_b64 s[30:31], s[44:45]
	s_cbranch_execz .LBB9_15
; %bb.14:                               ;   in Loop: Header=BB9_9 Depth=2
	flat_load_dword v6, v[4:5]
	ds_read_b32 v7, v1
	s_waitcnt vmcnt(0) lgkmcnt(0)
	v_div_scale_f32 v8, s[44:45], v6, v6, v7
	v_rcp_f32_e32 v9, v8
	v_div_scale_f32 v13, vcc, v7, v6, v7
	v_fma_f32 v14, -v8, v9, 1.0
	v_fmac_f32_e32 v9, v14, v9
	v_mul_f32_e32 v14, v13, v9
	v_fma_f32 v15, -v8, v14, v13
	v_fmac_f32_e32 v14, v15, v9
	v_fma_f32 v8, -v8, v14, v13
	v_div_fmas_f32 v8, v8, v9, v14
	v_div_fixup_f32 v6, v8, v6, v7
	ds_write_b32 v1, v6
.LBB9_15:                               ;   in Loop: Header=BB9_9 Depth=2
	s_or_b64 exec, exec, s[30:31]
	s_cmp_le_i32 s38, s35
	v_cmp_le_u32_e32 vcc, s38, v0
	s_cselect_b64 s[30:31], -1, 0
	s_or_b64 s[30:31], vcc, s[30:31]
	s_nor_b64 s[44:45], s[2:3], s[30:31]
	s_waitcnt lgkmcnt(0)
	s_barrier
	s_and_saveexec_b64 s[30:31], s[44:45]
	s_cbranch_execz .LBB9_8
; %bb.16:                               ;   in Loop: Header=BB9_9 Depth=2
	v_add_u32_e32 v6, -1, v2
	v_mov_b32_e32 v7, v3
	v_lshl_add_u64 v[6:7], v[6:7], 2, v[4:5]
	flat_load_dword v6, v[6:7]
	v_mov_b32_e32 v7, s37
	ds_read_b32 v7, v7
	ds_read_b32 v8, v1
	s_waitcnt vmcnt(0) lgkmcnt(0)
	v_fma_f32 v6, -v6, v7, v8
	ds_write_b32 v1, v6
	s_branch .LBB9_8
.LBB9_17:                               ;   in Loop: Header=BB9_5 Depth=1
	s_add_i32 s44, s34, 0xfffffe00
	s_cmp_lt_i32 s34, 1
	s_cselect_b64 s[2:3], -1, 0
	s_and_b64 vcc, exec, s[2:3]
	s_waitcnt lgkmcnt(0)
	s_barrier
	s_cbranch_vccnz .LBB9_41
; %bb.18:                               ;   in Loop: Header=BB9_5 Depth=1
	v_ashrrev_i32_e32 v2, 31, v11
	v_mad_i64_i32 v[4:5], s[28:29], v11, -4, s[4:5]
	v_mov_b32_e32 v7, s33
	v_sub_co_u32_e32 v6, vcc, s14, v11
	s_mov_b64 s[28:29], 0
	s_nop 0
	v_subb_co_u32_e32 v7, vcc, v7, v2, vcc
	v_mov_b32_e32 v2, v11
	v_mov_b32_e32 v13, v0
	s_mov_b32 s45, s44
                                        ; implicit-def: $sgpr30_sgpr31
	s_branch .LBB9_21
.LBB9_19:                               ;   in Loop: Header=BB9_21 Depth=2
	v_mad_u64_u32 v[8:9], s[36:37], s6, v14, 0
	v_mov_b32_e32 v16, v9
	v_mad_u64_u32 v[16:17], s[36:37], s7, v14, v[16:17]
	v_mov_b32_e32 v9, v16
	v_lshl_add_u64 v[8:9], v[8:9], 2, s[12:13]
	flat_load_dword v14, v[8:9]
	s_add_i32 s38, s45, 0xfffffe00
	s_cmp_lt_i32 s45, 1
	s_cselect_b64 s[36:37], -1, 0
	s_andn2_b64 s[30:31], s[30:31], exec
	s_and_b64 s[36:37], s[36:37], exec
	v_add_u32_e32 v13, 0xfffffe00, v13
	v_lshl_add_u64 v[4:5], v[4:5], 0, s[24:25]
	v_lshl_add_u64 v[6:7], v[6:7], 0, s[26:27]
	v_add_u32_e32 v2, 0xfffffe00, v2
	s_or_b64 s[30:31], s[30:31], s[36:37]
	s_mov_b32 s45, s38
	s_waitcnt vmcnt(0) lgkmcnt(0)
	v_sub_f32_e32 v14, v14, v15
	flat_store_dword v[8:9], v14
.LBB9_20:                               ;   in Loop: Header=BB9_21 Depth=2
	s_or_b64 exec, exec, s[34:35]
	s_and_b64 s[34:35], exec, s[30:31]
	s_or_b64 s[28:29], s[34:35], s[28:29]
	s_andn2_b64 exec, exec, s[28:29]
	s_cbranch_execz .LBB9_40
.LBB9_21:                               ;   Parent Loop BB9_5 Depth=1
                                        ; =>  This Loop Header: Depth=2
                                        ;       Child Loop BB9_24 Depth 3
	v_add_u32_e32 v14, s45, v0
	v_cmp_lt_i32_e32 vcc, -1, v14
	s_or_b64 s[30:31], s[30:31], exec
	s_and_saveexec_b64 s[34:35], vcc
	s_cbranch_execz .LBB9_20
; %bb.22:                               ;   in Loop: Header=BB9_21 Depth=2
	v_mad_u64_u32 v[8:9], s[36:37], v6, v2, 0
	v_mov_b32_e32 v16, v9
	v_mad_u64_u32 v[16:17], s[36:37], v7, v2, v[16:17]
	v_mov_b32_e32 v9, v16
	v_lshlrev_b64 v[8:9], 1, v[8:9]
	v_and_b32_e32 v8, -4, v8
	v_lshl_add_u64 v[8:9], v[4:5], 0, v[8:9]
	v_mov_b32_e32 v15, 0
	s_movk_i32 s46, 0x800
	s_movk_i32 s47, 0x200
	s_branch .LBB9_24
.LBB9_23:                               ;   in Loop: Header=BB9_24 Depth=3
	s_or_b64 exec, exec, s[36:37]
	s_waitcnt lgkmcnt(0)
	v_add_f32_e32 v15, v15, v16
	v_add_f32_e32 v15, v15, v18
	;; [unrolled: 1-line block ×3, first 2 shown]
	s_add_i32 s46, s46, 16
	s_add_i32 s47, s47, -4
	v_add_f32_e32 v15, v15, v17
	s_cmp_eq_u32 s47, 0
	v_lshl_add_u64 v[8:9], v[8:9], 0, 16
	s_cbranch_scc1 .LBB9_19
.LBB9_24:                               ;   Parent Loop BB9_5 Depth=1
                                        ;     Parent Loop BB9_21 Depth=2
                                        ; =>    This Inner Loop Header: Depth=3
	v_add_u32_e32 v17, s47, v13
	v_cmp_ne_u32_e32 vcc, s40, v17
	s_xor_b64 s[36:37], s[8:9], -1
	s_or_b64 s[38:39], s[36:37], vcc
                                        ; implicit-def: $vgpr16
	s_and_saveexec_b64 s[48:49], s[38:39]
	s_xor_b64 s[38:39], exec, s[48:49]
	s_cbranch_execz .LBB9_26
; %bb.25:                               ;   in Loop: Header=BB9_24 Depth=3
	flat_load_dword v16, v[8:9]
	v_mov_b32_e32 v18, s46
	ds_read_b32 v18, v18
	s_waitcnt vmcnt(0) lgkmcnt(0)
	v_mul_f32_e32 v16, v16, v18
.LBB9_26:                               ;   in Loop: Header=BB9_24 Depth=3
	s_andn2_saveexec_b64 s[38:39], s[38:39]
; %bb.27:                               ;   in Loop: Header=BB9_24 Depth=3
	v_mov_b32_e32 v16, s46
	ds_read_b32 v16, v16
; %bb.28:                               ;   in Loop: Header=BB9_24 Depth=3
	s_or_b64 exec, exec, s[38:39]
	v_cmp_ne_u32_e32 vcc, s41, v17
	s_or_b64 s[38:39], s[36:37], vcc
                                        ; implicit-def: $vgpr18
	s_and_saveexec_b64 s[48:49], s[38:39]
	s_xor_b64 s[38:39], exec, s[48:49]
	s_cbranch_execz .LBB9_30
; %bb.29:                               ;   in Loop: Header=BB9_24 Depth=3
	flat_load_dword v18, v[8:9] offset:4
	v_mov_b32_e32 v19, s46
	ds_read_b32 v19, v19 offset:4
	s_waitcnt vmcnt(0) lgkmcnt(0)
	v_mul_f32_e32 v18, v18, v19
.LBB9_30:                               ;   in Loop: Header=BB9_24 Depth=3
	s_andn2_saveexec_b64 s[38:39], s[38:39]
; %bb.31:                               ;   in Loop: Header=BB9_24 Depth=3
	v_mov_b32_e32 v18, s46
	ds_read_b32 v18, v18 offset:4
; %bb.32:                               ;   in Loop: Header=BB9_24 Depth=3
	s_or_b64 exec, exec, s[38:39]
	v_cmp_ne_u32_e32 vcc, s42, v17
	s_or_b64 s[38:39], s[36:37], vcc
                                        ; implicit-def: $vgpr19
	s_and_saveexec_b64 s[48:49], s[38:39]
	s_xor_b64 s[38:39], exec, s[48:49]
	s_cbranch_execz .LBB9_34
; %bb.33:                               ;   in Loop: Header=BB9_24 Depth=3
	flat_load_dword v19, v[8:9] offset:8
	v_mov_b32_e32 v20, s46
	ds_read_b32 v20, v20 offset:8
	s_waitcnt vmcnt(0) lgkmcnt(0)
	v_mul_f32_e32 v19, v19, v20
.LBB9_34:                               ;   in Loop: Header=BB9_24 Depth=3
	s_andn2_saveexec_b64 s[38:39], s[38:39]
; %bb.35:                               ;   in Loop: Header=BB9_24 Depth=3
	v_mov_b32_e32 v19, s46
	ds_read_b32 v19, v19 offset:8
; %bb.36:                               ;   in Loop: Header=BB9_24 Depth=3
	s_or_b64 exec, exec, s[38:39]
	v_cmp_ne_u32_e32 vcc, s43, v17
	s_or_b64 s[36:37], s[36:37], vcc
                                        ; implicit-def: $vgpr17
	s_and_saveexec_b64 s[38:39], s[36:37]
	s_xor_b64 s[36:37], exec, s[38:39]
	s_cbranch_execz .LBB9_38
; %bb.37:                               ;   in Loop: Header=BB9_24 Depth=3
	flat_load_dword v17, v[8:9] offset:12
	v_mov_b32_e32 v20, s46
	ds_read_b32 v20, v20 offset:12
	s_waitcnt vmcnt(0) lgkmcnt(0)
	v_mul_f32_e32 v17, v17, v20
.LBB9_38:                               ;   in Loop: Header=BB9_24 Depth=3
	s_andn2_saveexec_b64 s[36:37], s[36:37]
	s_cbranch_execz .LBB9_23
; %bb.39:                               ;   in Loop: Header=BB9_24 Depth=3
	v_mov_b32_e32 v17, s46
	ds_read_b32 v17, v17 offset:12
	s_branch .LBB9_23
.LBB9_40:                               ;   in Loop: Header=BB9_5 Depth=1
	s_or_b64 exec, exec, s[28:29]
.LBB9_41:                               ;   in Loop: Header=BB9_5 Depth=1
	s_and_saveexec_b64 s[28:29], s[0:1]
	s_cbranch_execz .LBB9_4
; %bb.42:                               ;   in Loop: Header=BB9_5 Depth=1
	ds_read_b32 v8, v1
	v_mad_u64_u32 v[4:5], s[0:1], s6, v12, 0
	v_mov_b32_e32 v2, v5
	v_mad_u64_u32 v[6:7], s[0:1], s7, v12, v[2:3]
	v_mov_b32_e32 v5, v6
	v_lshl_add_u64 v[4:5], v[4:5], 2, s[12:13]
	s_waitcnt lgkmcnt(0)
	flat_store_dword v[4:5], v8
	s_branch .LBB9_4
.LBB9_43:
	s_mov_b64 s[0:1], 0
.LBB9_44:
	s_andn2_b64 vcc, exec, s[0:1]
	s_cbranch_vccnz .LBB9_92
; %bb.45:
	s_andn2_b64 vcc, exec, s[16:17]
	s_cbranch_vccnz .LBB9_92
; %bb.46:
	v_mov_b32_e32 v3, 0
	v_mov_b32_e32 v1, v3
	v_mad_u64_u32 v[4:5], s[0:1], v0, v0, v[0:1]
	v_lshlrev_b32_e32 v2, 10, v0
	s_mov_b64 s[0:1], 0x40200
	v_lshl_add_u64 v[6:7], v[2:3], 0, s[0:1]
	v_or_b32_e32 v2, 0x200, v0
	v_lshlrev_b32_e32 v14, 2, v0
	s_mov_b32 s14, 0
	v_add_u32_e32 v1, 0x201, v0
	s_xor_b64 s[4:5], s[8:9], -1
	s_mov_b64 s[24:25], 0x200
	s_mov_b64 s[26:27], 0x80000
	v_mov_b64_e32 v[8:9], v[2:3]
	s_mov_b64 s[28:29], s[10:11]
	s_branch .LBB9_48
.LBB9_47:                               ;   in Loop: Header=BB9_48 Depth=1
	s_or_b64 exec, exec, s[30:31]
	s_add_u32 s28, s28, 0x800
	v_lshl_add_u64 v[10:11], v[6:7], 0, s[26:27]
	s_addc_u32 s29, s29, 0
	v_lshl_add_u64 v[4:5], v[4:5], 0, v[6:7]
	v_lshl_add_u64 v[8:9], v[8:9], 0, s[24:25]
	v_add_u32_e32 v1, 0x200, v1
	s_and_b64 vcc, exec, s[2:3]
	v_mov_b64_e32 v[6:7], v[10:11]
	s_mov_b32 s14, s33
	s_waitcnt lgkmcnt(0)
	s_barrier
	s_cbranch_vccnz .LBB9_92
.LBB9_48:                               ; =>This Loop Header: Depth=1
                                        ;     Child Loop BB9_52 Depth 2
                                        ;     Child Loop BB9_66 Depth 2
                                        ;       Child Loop BB9_69 Depth 3
	v_add_u32_e32 v15, s14, v0
	v_cmp_le_i32_e32 vcc, s15, v15
	v_cmp_gt_i32_e64 s[0:1], s15, v15
	s_and_saveexec_b64 s[2:3], s[0:1]
	s_cbranch_execz .LBB9_50
; %bb.49:                               ;   in Loop: Header=BB9_48 Depth=1
	v_mad_u64_u32 v[10:11], s[30:31], s6, v15, 0
	v_mov_b32_e32 v2, v11
	v_mad_u64_u32 v[12:13], s[30:31], s7, v15, v[2:3]
	v_mov_b32_e32 v11, v12
	v_lshl_add_u64 v[10:11], v[10:11], 2, s[12:13]
	flat_load_dword v2, v[10:11]
	s_waitcnt vmcnt(0) lgkmcnt(0)
	ds_write_b32 v14, v2
.LBB9_50:                               ;   in Loop: Header=BB9_48 Depth=1
	s_or_b64 exec, exec, s[2:3]
	v_or_b32_e32 v2, s14, v0
	v_add_u32_e32 v12, 1, v2
	v_mad_u64_u32 v[12:13], s[30:31], v12, v2, 0
	v_lshlrev_b64 v[10:11], 1, v[4:5]
	v_lshlrev_b64 v[12:13], 1, v[12:13]
	v_and_b32_e32 v10, -4, v10
	v_lshl_add_u64 v[16:17], v[2:3], 2, s[10:11]
	v_and_b32_e32 v12, -4, v12
	v_lshl_add_u64 v[10:11], s[28:29], 0, v[10:11]
	v_cmp_le_i32_e64 s[2:3], s15, v2
	v_lshl_add_u64 v[12:13], v[16:17], 0, v[12:13]
	s_mov_b32 s33, 0
	s_xor_b64 s[30:31], vcc, -1
	s_mov_b32 s36, 0
	s_waitcnt lgkmcnt(0)
	s_barrier
	s_branch .LBB9_52
.LBB9_51:                               ;   in Loop: Header=BB9_52 Depth=2
	s_or_b64 exec, exec, s[34:35]
	s_add_i32 s33, s33, 8
	s_add_i32 s36, s37, 1
	s_cmpk_eq_i32 s36, 0x200
	v_lshl_add_u64 v[10:11], v[10:11], 0, 8
	s_cbranch_scc1 .LBB9_62
.LBB9_52:                               ;   Parent Loop BB9_48 Depth=1
                                        ; =>  This Inner Loop Header: Depth=2
	v_cmp_ne_u32_e32 vcc, s36, v0
	s_or_b64 s[34:35], s[8:9], vcc
	s_nor_b64 s[38:39], s[34:35], s[2:3]
	s_and_saveexec_b64 s[34:35], s[38:39]
	s_cbranch_execz .LBB9_54
; %bb.53:                               ;   in Loop: Header=BB9_52 Depth=2
	flat_load_dword v2, v[12:13]
	ds_read_b32 v16, v14
	s_waitcnt vmcnt(0) lgkmcnt(0)
	v_div_scale_f32 v17, s[38:39], v2, v2, v16
	v_rcp_f32_e32 v18, v17
	v_div_scale_f32 v19, vcc, v16, v2, v16
	v_fma_f32 v20, -v17, v18, 1.0
	v_fmac_f32_e32 v18, v20, v18
	v_mul_f32_e32 v20, v19, v18
	v_fma_f32 v21, -v17, v20, v19
	v_fmac_f32_e32 v20, v21, v18
	v_fma_f32 v17, -v17, v20, v19
	v_div_fmas_f32 v17, v17, v18, v20
	v_div_fixup_f32 v2, v17, v2, v16
	ds_write_b32 v14, v2
.LBB9_54:                               ;   in Loop: Header=BB9_52 Depth=2
	s_or_b64 exec, exec, s[34:35]
	v_cmp_lt_u32_e32 vcc, s36, v0
	s_waitcnt lgkmcnt(0)
	s_barrier
	s_and_saveexec_b64 s[34:35], vcc
	s_cbranch_execz .LBB9_57
; %bb.55:                               ;   in Loop: Header=BB9_52 Depth=2
	s_add_i32 s37, s14, s36
	s_cmp_lt_i32 s37, s15
	s_cselect_b64 s[38:39], -1, 0
	s_and_b64 s[38:39], s[30:31], s[38:39]
	s_and_b64 exec, exec, s[38:39]
	s_cbranch_execz .LBB9_57
; %bb.56:                               ;   in Loop: Header=BB9_52 Depth=2
	flat_load_dword v2, v[10:11]
	v_mov_b32_e32 v16, s33
	ds_read_b32 v16, v16
	ds_read_b32 v17, v14
	s_waitcnt vmcnt(0) lgkmcnt(0)
	v_fma_f32 v2, -v2, v16, v17
	ds_write_b32 v14, v2
.LBB9_57:                               ;   in Loop: Header=BB9_52 Depth=2
	s_or_b64 exec, exec, s[34:35]
	s_add_i32 s37, s36, 1
	v_cmp_ne_u32_e32 vcc, s37, v0
	s_or_b64 s[34:35], s[8:9], vcc
	s_nor_b64 s[38:39], s[34:35], s[2:3]
	s_and_saveexec_b64 s[34:35], s[38:39]
	s_cbranch_execz .LBB9_59
; %bb.58:                               ;   in Loop: Header=BB9_52 Depth=2
	flat_load_dword v2, v[12:13]
	ds_read_b32 v16, v14
	s_waitcnt vmcnt(0) lgkmcnt(0)
	v_div_scale_f32 v17, s[38:39], v2, v2, v16
	v_rcp_f32_e32 v18, v17
	v_div_scale_f32 v19, vcc, v16, v2, v16
	v_fma_f32 v20, -v17, v18, 1.0
	v_fmac_f32_e32 v18, v20, v18
	v_mul_f32_e32 v20, v19, v18
	v_fma_f32 v21, -v17, v20, v19
	v_fmac_f32_e32 v20, v21, v18
	v_fma_f32 v17, -v17, v20, v19
	v_div_fmas_f32 v17, v17, v18, v20
	v_div_fixup_f32 v2, v17, v2, v16
	ds_write_b32 v14, v2
.LBB9_59:                               ;   in Loop: Header=BB9_52 Depth=2
	s_or_b64 exec, exec, s[34:35]
	v_cmp_lt_u32_e32 vcc, s37, v0
	s_waitcnt lgkmcnt(0)
	s_barrier
	s_and_saveexec_b64 s[34:35], vcc
	s_cbranch_execz .LBB9_51
; %bb.60:                               ;   in Loop: Header=BB9_52 Depth=2
	s_add_i32 s36, s14, s36
	s_add_i32 s36, s36, 1
	s_cmp_lt_i32 s36, s15
	s_cselect_b64 s[38:39], -1, 0
	s_and_b64 s[38:39], s[30:31], s[38:39]
	s_and_b64 exec, exec, s[38:39]
	s_cbranch_execz .LBB9_51
; %bb.61:                               ;   in Loop: Header=BB9_52 Depth=2
	flat_load_dword v2, v[10:11] offset:4
	v_mov_b32_e32 v16, s33
	ds_read_b32 v16, v16 offset:4
	ds_read_b32 v17, v14
	s_waitcnt vmcnt(0) lgkmcnt(0)
	v_fma_f32 v2, -v2, v16, v17
	ds_write_b32 v14, v2
	s_branch .LBB9_51
.LBB9_62:                               ;   in Loop: Header=BB9_48 Depth=1
	s_add_i32 s33, s14, 0x200
	s_cmp_ge_i32 s33, s15
	s_cselect_b64 s[2:3], -1, 0
	s_and_b64 vcc, exec, s[2:3]
	s_waitcnt lgkmcnt(0)
	s_barrier
	s_cbranch_vccnz .LBB9_90
; %bb.63:                               ;   in Loop: Header=BB9_48 Depth=1
	s_mov_b64 s[30:31], 0
	v_mov_b32_e32 v2, v1
	v_mov_b64_e32 v[10:11], v[8:9]
	v_mov_b32_e32 v16, v0
	s_mov_b32 s40, s33
                                        ; implicit-def: $sgpr34_sgpr35
	s_branch .LBB9_66
.LBB9_64:                               ;   in Loop: Header=BB9_66 Depth=2
	v_mad_u64_u32 v[12:13], s[38:39], s6, v17, 0
	v_mov_b32_e32 v20, v13
	v_mad_u64_u32 v[20:21], s[38:39], s7, v17, v[20:21]
	v_mov_b32_e32 v13, v20
	v_lshl_add_u64 v[12:13], v[12:13], 2, s[12:13]
	flat_load_dword v17, v[12:13]
	s_addk_i32 s40, 0x200
	s_cmp_ge_i32 s40, s15
	s_cselect_b64 s[38:39], -1, 0
	s_andn2_b64 s[34:35], s[34:35], exec
	s_and_b64 s[38:39], s[38:39], exec
	v_lshl_add_u64 v[10:11], v[10:11], 0, s[24:25]
	v_add_u32_e32 v2, 0x200, v2
	s_or_b64 s[34:35], s[34:35], s[38:39]
	s_waitcnt vmcnt(0) lgkmcnt(0)
	v_sub_f32_e32 v17, v17, v18
	flat_store_dword v[12:13], v17
.LBB9_65:                               ;   in Loop: Header=BB9_66 Depth=2
	s_or_b64 exec, exec, s[36:37]
	s_and_b64 s[36:37], exec, s[34:35]
	s_or_b64 s[30:31], s[36:37], s[30:31]
	s_andn2_b64 exec, exec, s[30:31]
	s_cbranch_execz .LBB9_89
.LBB9_66:                               ;   Parent Loop BB9_48 Depth=1
                                        ; =>  This Loop Header: Depth=2
                                        ;       Child Loop BB9_69 Depth 3
	v_add_u32_e32 v17, s40, v0
	v_cmp_gt_i32_e32 vcc, s15, v17
	s_or_b64 s[34:35], s[34:35], exec
	s_and_saveexec_b64 s[36:37], vcc
	s_cbranch_execz .LBB9_65
; %bb.67:                               ;   in Loop: Header=BB9_66 Depth=2
	v_mad_u64_u32 v[12:13], s[38:39], v10, v2, 0
	v_mov_b32_e32 v18, v13
	v_mad_u64_u32 v[18:19], s[38:39], v11, v2, v[18:19]
	v_mov_b32_e32 v13, v18
	v_lshlrev_b64 v[12:13], 1, v[12:13]
	v_and_b32_e32 v12, -4, v12
	v_lshl_add_u64 v[12:13], s[28:29], 0, v[12:13]
	v_add_u32_e32 v19, 0x1fd, v16
	v_add_u32_e32 v20, 0x1fe, v16
	;; [unrolled: 1-line block ×4, first 2 shown]
	v_mov_b32_e32 v18, 0
	s_mov_b32 s41, 0
	s_mov_b32 s42, 0
	s_branch .LBB9_69
.LBB9_68:                               ;   in Loop: Header=BB9_69 Depth=3
	s_or_b64 exec, exec, s[38:39]
	s_add_i32 s42, s42, 4
	s_add_i32 s41, s41, 16
	s_cmpk_eq_i32 s42, 0x200
	v_lshl_add_u64 v[12:13], v[12:13], 0, 16
	s_cbranch_scc1 .LBB9_64
.LBB9_69:                               ;   Parent Loop BB9_48 Depth=1
                                        ;     Parent Loop BB9_66 Depth=2
                                        ; =>    This Inner Loop Header: Depth=3
	v_cmp_ne_u32_e32 vcc, s42, v16
	s_add_i32 s43, s14, s42
	s_or_b64 s[38:39], s[4:5], vcc
	s_and_saveexec_b64 s[44:45], s[38:39]
	s_xor_b64 s[38:39], exec, s[44:45]
	s_cbranch_execz .LBB9_72
; %bb.70:                               ;   in Loop: Header=BB9_69 Depth=3
	s_cmp_ge_i32 s43, s15
	s_cbranch_scc1 .LBB9_72
; %bb.71:                               ;   in Loop: Header=BB9_69 Depth=3
	flat_load_dword v22, v[12:13]
	v_mov_b32_e32 v23, s41
	ds_read_b32 v23, v23
	s_waitcnt vmcnt(0) lgkmcnt(0)
	v_fmac_f32_e32 v18, v22, v23
.LBB9_72:                               ;   in Loop: Header=BB9_69 Depth=3
	s_andn2_saveexec_b64 s[38:39], s[38:39]
	s_cbranch_execz .LBB9_74
; %bb.73:                               ;   in Loop: Header=BB9_69 Depth=3
	v_mov_b32_e32 v22, s41
	ds_read_b32 v22, v22
	s_waitcnt lgkmcnt(0)
	v_add_f32_e32 v18, v18, v22
.LBB9_74:                               ;   in Loop: Header=BB9_69 Depth=3
	s_or_b64 exec, exec, s[38:39]
	v_cmp_ne_u32_e32 vcc, s42, v21
	s_or_b64 s[38:39], s[4:5], vcc
	s_and_saveexec_b64 s[44:45], s[38:39]
	s_xor_b64 s[38:39], exec, s[44:45]
	s_cbranch_execz .LBB9_77
; %bb.75:                               ;   in Loop: Header=BB9_69 Depth=3
	s_add_i32 s44, s43, 1
	s_cmp_ge_i32 s44, s15
	s_cbranch_scc1 .LBB9_77
; %bb.76:                               ;   in Loop: Header=BB9_69 Depth=3
	flat_load_dword v22, v[12:13] offset:4
	v_mov_b32_e32 v23, s41
	ds_read_b32 v23, v23 offset:4
	s_waitcnt vmcnt(0) lgkmcnt(0)
	v_fmac_f32_e32 v18, v22, v23
.LBB9_77:                               ;   in Loop: Header=BB9_69 Depth=3
	s_andn2_saveexec_b64 s[38:39], s[38:39]
	s_cbranch_execz .LBB9_79
; %bb.78:                               ;   in Loop: Header=BB9_69 Depth=3
	v_mov_b32_e32 v22, s41
	ds_read_b32 v22, v22 offset:4
	s_waitcnt lgkmcnt(0)
	v_add_f32_e32 v18, v18, v22
.LBB9_79:                               ;   in Loop: Header=BB9_69 Depth=3
	s_or_b64 exec, exec, s[38:39]
	v_cmp_ne_u32_e32 vcc, s42, v20
	s_or_b64 s[38:39], s[4:5], vcc
	s_and_saveexec_b64 s[44:45], s[38:39]
	s_xor_b64 s[38:39], exec, s[44:45]
	s_cbranch_execz .LBB9_82
; %bb.80:                               ;   in Loop: Header=BB9_69 Depth=3
	s_add_i32 s44, s43, 2
	s_cmp_ge_i32 s44, s15
	s_cbranch_scc1 .LBB9_82
; %bb.81:                               ;   in Loop: Header=BB9_69 Depth=3
	flat_load_dword v22, v[12:13] offset:8
	v_mov_b32_e32 v23, s41
	ds_read_b32 v23, v23 offset:8
	s_waitcnt vmcnt(0) lgkmcnt(0)
	v_fmac_f32_e32 v18, v22, v23
.LBB9_82:                               ;   in Loop: Header=BB9_69 Depth=3
	s_andn2_saveexec_b64 s[38:39], s[38:39]
	s_cbranch_execz .LBB9_84
; %bb.83:                               ;   in Loop: Header=BB9_69 Depth=3
	v_mov_b32_e32 v22, s41
	ds_read_b32 v22, v22 offset:8
	s_waitcnt lgkmcnt(0)
	v_add_f32_e32 v18, v18, v22
.LBB9_84:                               ;   in Loop: Header=BB9_69 Depth=3
	s_or_b64 exec, exec, s[38:39]
	v_cmp_ne_u32_e32 vcc, s42, v19
	s_or_b64 s[38:39], s[4:5], vcc
	s_and_saveexec_b64 s[44:45], s[38:39]
	s_xor_b64 s[38:39], exec, s[44:45]
	s_cbranch_execz .LBB9_87
; %bb.85:                               ;   in Loop: Header=BB9_69 Depth=3
	s_add_i32 s43, s43, 3
	s_cmp_ge_i32 s43, s15
	s_cbranch_scc1 .LBB9_87
; %bb.86:                               ;   in Loop: Header=BB9_69 Depth=3
	flat_load_dword v22, v[12:13] offset:12
	v_mov_b32_e32 v23, s41
	ds_read_b32 v23, v23 offset:12
	s_waitcnt vmcnt(0) lgkmcnt(0)
	v_fmac_f32_e32 v18, v22, v23
.LBB9_87:                               ;   in Loop: Header=BB9_69 Depth=3
	s_andn2_saveexec_b64 s[38:39], s[38:39]
	s_cbranch_execz .LBB9_68
; %bb.88:                               ;   in Loop: Header=BB9_69 Depth=3
	v_mov_b32_e32 v22, s41
	ds_read_b32 v22, v22 offset:12
	s_waitcnt lgkmcnt(0)
	v_add_f32_e32 v18, v18, v22
	s_branch .LBB9_68
.LBB9_89:                               ;   in Loop: Header=BB9_48 Depth=1
	s_or_b64 exec, exec, s[30:31]
.LBB9_90:                               ;   in Loop: Header=BB9_48 Depth=1
	s_and_saveexec_b64 s[30:31], s[0:1]
	s_cbranch_execz .LBB9_47
; %bb.91:                               ;   in Loop: Header=BB9_48 Depth=1
	ds_read_b32 v16, v14
	v_mad_u64_u32 v[10:11], s[0:1], s6, v15, 0
	v_mov_b32_e32 v2, v11
	v_mad_u64_u32 v[12:13], s[0:1], s7, v15, v[2:3]
	v_mov_b32_e32 v11, v12
	v_lshl_add_u64 v[10:11], v[10:11], 2, s[12:13]
	s_waitcnt lgkmcnt(0)
	flat_store_dword v[10:11], v16
	s_branch .LBB9_47
.LBB9_92:
	s_mov_b64 s[0:1], 0
.LBB9_93:
	s_andn2_b64 vcc, exec, s[0:1]
	s_cbranch_vccnz .LBB9_180
; %bb.94:
	s_mov_b64 s[0:1], -1
	s_and_b64 vcc, exec, s[22:23]
	s_cbranch_vccz .LBB9_134
; %bb.95:
	s_andn2_b64 vcc, exec, s[16:17]
	s_cbranch_vccnz .LBB9_133
; %bb.96:
	s_lshl_b32 s22, s15, 1
	s_or_b32 s14, s22, 1
	s_ashr_i32 s23, s22, 31
	s_add_u32 s18, s18, s20
	s_addc_u32 s19, s19, s21
	s_lshl_b64 s[0:1], s[22:23], 9
	s_add_u32 s42, s0, 0xfffbfe00
	s_addc_u32 s43, s1, -1
	s_lshl_b64 s[2:3], s[22:23], 1
	s_add_u32 s20, s2, -6
	s_addc_u32 s21, s3, -1
	v_mov_b32_e32 v1, 0
	s_add_u32 s40, s0, 0xfffc0200
	v_lshlrev_b32_e32 v2, 2, v0
	v_mov_b32_e32 v3, v1
	s_addc_u32 s41, s1, -1
	v_lshl_add_u64 v[4:5], s[18:19], 0, v[2:3]
	s_add_u32 s24, s2, -2
	v_lshl_add_u64 v[6:7], v[4:5], 0, -4
	s_addc_u32 s25, s3, -1
	v_or_b32_e32 v8, 0x200, v0
	s_mov_b64 s[26:27], -1
	s_mov_b64 s[28:29], 0
	s_mov_b64 s[30:31], 0x200
	;; [unrolled: 1-line block ×6, first 2 shown]
	s_branch .LBB9_98
.LBB9_97:                               ;   in Loop: Header=BB9_98 Depth=1
	s_or_b64 exec, exec, s[44:45]
	s_add_u32 s0, s42, 0xfff80000
	s_addc_u32 s1, s43, -1
	s_add_u32 s22, s22, s42
	s_addc_u32 s23, s23, s43
	s_add_u32 s20, s20, 0xfffff800
	s_addc_u32 s21, s21, -1
	s_add_u32 s42, s40, 0xfff80000
	s_addc_u32 s43, s41, -1
	s_add_u32 s28, s28, s40
	s_addc_u32 s29, s29, s41
	s_add_u32 s24, s24, 0xfffff800
	s_addc_u32 s25, s25, -1
	s_add_u32 s26, s26, 0xfffffe00
	s_addc_u32 s27, s27, -1
	s_add_u32 s38, s38, 0xfffffe00
	v_add_u32_e32 v8, 0x200, v8
	s_addc_u32 s39, s39, -1
	s_and_b64 vcc, exec, s[4:5]
	s_mov_b64 s[40:41], s[42:43]
	s_mov_b64 s[42:43], s[0:1]
	;; [unrolled: 1-line block ×3, first 2 shown]
	s_waitcnt lgkmcnt(0)
	s_barrier
	s_cbranch_vccnz .LBB9_133
.LBB9_98:                               ; =>This Loop Header: Depth=1
                                        ;     Child Loop BB9_102 Depth 2
                                        ;     Child Loop BB9_116 Depth 2
                                        ;       Child Loop BB9_118 Depth 3
	v_add_u32_e32 v3, s44, v0
	v_cmp_le_i32_e64 s[2:3], s15, v3
	v_cmp_gt_i32_e64 s[0:1], s15, v3
	s_and_saveexec_b64 s[4:5], s[0:1]
	s_cbranch_execz .LBB9_100
; %bb.99:                               ;   in Loop: Header=BB9_98 Depth=1
	v_mad_u64_u32 v[10:11], s[46:47], s6, v3, 0
	v_mov_b32_e32 v12, v11
	v_mad_u64_u32 v[12:13], s[46:47], s7, v3, v[12:13]
	v_mov_b32_e32 v11, v12
	v_lshl_add_u64 v[10:11], v[10:11], 2, s[12:13]
	flat_load_dword v9, v[10:11]
	s_waitcnt vmcnt(0) lgkmcnt(0)
	ds_write_b32 v2, v9
.LBB9_100:                              ;   in Loop: Header=BB9_98 Depth=1
	s_or_b64 exec, exec, s[4:5]
	v_or_b32_e32 v9, s44, v0
	v_sub_u32_e32 v10, s14, v9
	v_ashrrev_i32_e32 v13, 31, v10
	v_mad_u64_u32 v[10:11], s[46:47], v10, v9, 0
	v_mov_b32_e32 v12, v11
	v_mad_u64_u32 v[12:13], s[46:47], v13, v9, v[12:13]
	v_mov_b32_e32 v11, v12
	v_lshlrev_b64 v[10:11], 1, v[10:11]
	v_and_b32_e32 v10, -4, v10
	v_cmp_le_i32_e64 s[4:5], s15, v9
	v_lshl_add_u64 v[10:11], s[10:11], 0, v[10:11]
	s_mov_b32 s33, 0
	s_mov_b64 s[54:55], 0
	s_mov_b64 s[46:47], s[28:29]
	;; [unrolled: 1-line block ×3, first 2 shown]
	v_mov_b64_e32 v[12:13], v[4:5]
	s_mov_b64 s[48:49], s[22:23]
	s_mov_b64 s[52:53], s[20:21]
	v_mov_b64_e32 v[14:15], v[6:7]
	s_waitcnt lgkmcnt(0)
	s_barrier
	s_branch .LBB9_102
.LBB9_101:                              ;   in Loop: Header=BB9_102 Depth=2
	s_or_b64 exec, exec, s[56:57]
	s_add_i32 s33, s33, 8
	s_add_u32 s56, s52, -8
	s_addc_u32 s57, s53, -1
	s_add_u32 s48, s48, s52
	s_addc_u32 s49, s49, s53
	s_add_u32 s52, s50, -8
	s_addc_u32 s53, s51, -1
	s_add_u32 s46, s46, s50
	s_addc_u32 s47, s47, s51
	s_add_u32 s54, s58, 1
	s_addc_u32 s55, s55, 0
	v_lshl_add_u64 v[14:15], v[14:15], 0, -8
	v_lshl_add_u64 v[12:13], v[12:13], 0, -8
	s_cmpk_eq_i32 s54, 0x200
	s_mov_b64 s[50:51], s[52:53]
	s_mov_b64 s[52:53], s[56:57]
	s_cbranch_scc1 .LBB9_112
.LBB9_102:                              ;   Parent Loop BB9_98 Depth=1
                                        ; =>  This Inner Loop Header: Depth=2
	v_cmp_ne_u32_e32 vcc, s54, v0
	s_or_b64 s[56:57], s[8:9], vcc
	s_nor_b64 s[58:59], s[56:57], s[4:5]
	s_and_saveexec_b64 s[56:57], s[58:59]
	s_cbranch_execz .LBB9_104
; %bb.103:                              ;   in Loop: Header=BB9_102 Depth=2
	flat_load_dword v9, v[10:11]
	ds_read_b32 v16, v2
	s_waitcnt vmcnt(0) lgkmcnt(0)
	v_div_scale_f32 v17, s[58:59], v9, v9, v16
	v_rcp_f32_e32 v18, v17
	v_div_scale_f32 v19, vcc, v16, v9, v16
	v_fma_f32 v20, -v17, v18, 1.0
	v_fmac_f32_e32 v18, v20, v18
	v_mul_f32_e32 v20, v19, v18
	v_fma_f32 v21, -v17, v20, v19
	v_fmac_f32_e32 v20, v21, v18
	v_fma_f32 v17, -v17, v20, v19
	v_div_fmas_f32 v17, v17, v18, v20
	v_div_fixup_f32 v9, v17, v9, v16
	ds_write_b32 v2, v9
.LBB9_104:                              ;   in Loop: Header=BB9_102 Depth=2
	s_or_b64 exec, exec, s[56:57]
	v_cmp_lt_u32_e32 vcc, s54, v0
	s_waitcnt lgkmcnt(0)
	s_barrier
	s_and_saveexec_b64 s[56:57], vcc
	s_cbranch_execz .LBB9_107
; %bb.105:                              ;   in Loop: Header=BB9_102 Depth=2
	s_add_i32 s58, s44, s54
	s_cmp_lt_i32 s58, s15
	s_cselect_b64 s[58:59], -1, 0
	s_xor_b64 s[60:61], s[2:3], -1
	s_and_b64 s[58:59], s[60:61], s[58:59]
	s_and_b64 exec, exec, s[58:59]
	s_cbranch_execz .LBB9_107
; %bb.106:                              ;   in Loop: Header=BB9_102 Depth=2
	s_lshl_b64 s[58:59], s[46:47], 1
	s_and_b32 s58, s58, -4
	v_lshl_add_u64 v[16:17], v[12:13], 0, s[58:59]
	flat_load_dword v9, v[16:17]
	v_mov_b32_e32 v16, s33
	ds_read_b32 v16, v16
	ds_read_b32 v17, v2
	s_waitcnt vmcnt(0) lgkmcnt(0)
	v_fma_f32 v9, -v9, v16, v17
	ds_write_b32 v2, v9
.LBB9_107:                              ;   in Loop: Header=BB9_102 Depth=2
	s_or_b64 exec, exec, s[56:57]
	s_add_u32 s58, s54, 1
	v_cmp_ne_u32_e32 vcc, s58, v0
	s_addc_u32 s55, s55, 0
	s_or_b64 s[56:57], s[8:9], vcc
	s_nor_b64 s[60:61], s[56:57], s[4:5]
	s_and_saveexec_b64 s[56:57], s[60:61]
	s_cbranch_execz .LBB9_109
; %bb.108:                              ;   in Loop: Header=BB9_102 Depth=2
	flat_load_dword v9, v[10:11]
	ds_read_b32 v16, v2
	s_waitcnt vmcnt(0) lgkmcnt(0)
	v_div_scale_f32 v17, s[60:61], v9, v9, v16
	v_rcp_f32_e32 v18, v17
	v_div_scale_f32 v19, vcc, v16, v9, v16
	v_fma_f32 v20, -v17, v18, 1.0
	v_fmac_f32_e32 v18, v20, v18
	v_mul_f32_e32 v20, v19, v18
	v_fma_f32 v21, -v17, v20, v19
	v_fmac_f32_e32 v20, v21, v18
	v_fma_f32 v17, -v17, v20, v19
	v_div_fmas_f32 v17, v17, v18, v20
	v_div_fixup_f32 v9, v17, v9, v16
	ds_write_b32 v2, v9
.LBB9_109:                              ;   in Loop: Header=BB9_102 Depth=2
	s_or_b64 exec, exec, s[56:57]
	v_cmp_lt_u32_e32 vcc, s58, v0
	s_waitcnt lgkmcnt(0)
	s_barrier
	s_and_saveexec_b64 s[56:57], vcc
	s_cbranch_execz .LBB9_101
; %bb.110:                              ;   in Loop: Header=BB9_102 Depth=2
	s_add_i32 s54, s44, s54
	s_add_i32 s54, s54, 1
	s_cmp_lt_i32 s54, s15
	s_cselect_b64 s[60:61], -1, 0
	s_xor_b64 s[62:63], s[2:3], -1
	s_and_b64 s[60:61], s[62:63], s[60:61]
	s_and_b64 exec, exec, s[60:61]
	s_cbranch_execz .LBB9_101
; %bb.111:                              ;   in Loop: Header=BB9_102 Depth=2
	s_lshl_b64 s[60:61], s[48:49], 1
	s_and_b32 s60, s60, -4
	v_lshl_add_u64 v[16:17], v[14:15], 0, s[60:61]
	flat_load_dword v9, v[16:17]
	v_mov_b32_e32 v16, s33
	ds_read_b32 v16, v16 offset:4
	ds_read_b32 v17, v2
	s_waitcnt vmcnt(0) lgkmcnt(0)
	v_fma_f32 v9, -v9, v16, v17
	ds_write_b32 v2, v9
	s_branch .LBB9_101
.LBB9_112:                              ;   in Loop: Header=BB9_98 Depth=1
	s_add_u32 s2, s44, 0x200
	s_addc_u32 s3, s45, 0
	s_cmp_ge_i32 s2, s15
	s_cselect_b64 s[4:5], -1, 0
	s_and_b64 vcc, exec, s[4:5]
	s_waitcnt lgkmcnt(0)
	s_barrier
	s_cbranch_vccnz .LBB9_131
; %bb.113:                              ;   in Loop: Header=BB9_98 Depth=1
	v_ashrrev_i32_e32 v9, 31, v8
	v_lshl_add_u64 v[10:11], s[26:27], 0, v[8:9]
	v_lshl_add_u64 v[12:13], s[38:39], 0, v[8:9]
	s_mov_b32 s33, s2
	v_lshl_add_u64 v[10:11], v[10:11], 2, s[18:19]
	v_lshl_add_u64 v[12:13], v[12:13], 2, s[18:19]
	s_mov_b64 s[46:47], 0
	v_mov_b64_e32 v[14:15], v[0:1]
                                        ; implicit-def: $sgpr48_sgpr49
	s_branch .LBB9_116
.LBB9_114:                              ;   in Loop: Header=BB9_116 Depth=2
	v_mad_u64_u32 v[18:19], s[52:53], s6, v9, 0
	v_mov_b32_e32 v16, v19
	v_mad_u64_u32 v[20:21], s[52:53], s7, v9, v[16:17]
	v_mov_b32_e32 v19, v20
	v_lshl_add_u64 v[18:19], v[18:19], 2, s[12:13]
	flat_load_dword v9, v[18:19]
	s_addk_i32 s33, 0x200
	s_cmp_ge_i32 s33, s15
	s_cselect_b64 s[52:53], -1, 0
	s_andn2_b64 s[48:49], s[48:49], exec
	s_and_b64 s[52:53], s[52:53], exec
	v_lshl_add_u64 v[10:11], v[10:11], 0, s[36:37]
	v_lshl_add_u64 v[12:13], v[12:13], 0, s[36:37]
	s_or_b64 s[48:49], s[48:49], s[52:53]
	s_waitcnt vmcnt(0) lgkmcnt(0)
	v_sub_f32_e32 v9, v9, v17
	flat_store_dword v[18:19], v9
.LBB9_115:                              ;   in Loop: Header=BB9_116 Depth=2
	s_or_b64 exec, exec, s[50:51]
	s_and_b64 s[50:51], exec, s[48:49]
	s_or_b64 s[46:47], s[50:51], s[46:47]
	s_andn2_b64 exec, exec, s[46:47]
	s_cbranch_execz .LBB9_130
.LBB9_116:                              ;   Parent Loop BB9_98 Depth=1
                                        ; =>  This Loop Header: Depth=2
                                        ;       Child Loop BB9_118 Depth 3
	v_add_u32_e32 v9, s33, v0
	v_cmp_gt_i32_e32 vcc, s15, v9
	s_or_b64 s[48:49], s[48:49], exec
	s_and_saveexec_b64 s[50:51], vcc
	s_cbranch_execz .LBB9_115
; %bb.117:                              ;   in Loop: Header=BB9_116 Depth=2
	v_lshl_add_u64 v[16:17], v[14:15], 0, s[34:35]
	v_lshl_add_u64 v[14:15], v[14:15], 0, s[30:31]
	v_mov_b32_e32 v17, 0
	s_mov_b64 s[52:53], 0
	s_mov_b32 s45, 0
	s_mov_b64 s[54:55], s[28:29]
	s_mov_b64 s[58:59], s[24:25]
	v_mov_b64_e32 v[18:19], v[12:13]
	s_mov_b64 s[56:57], s[22:23]
	s_mov_b64 s[60:61], s[20:21]
	v_mov_b64_e32 v[20:21], v[10:11]
.LBB9_118:                              ;   Parent Loop BB9_98 Depth=1
                                        ;     Parent Loop BB9_116 Depth=2
                                        ; =>    This Inner Loop Header: Depth=3
	v_cmp_ne_u32_e32 vcc, s52, v14
	s_xor_b64 s[62:63], s[8:9], -1
	s_add_u32 s66, s44, s52
	s_or_b64 s[64:65], s[62:63], vcc
	s_and_saveexec_b64 s[68:69], s[64:65]
	s_xor_b64 s[64:65], exec, s[68:69]
	s_cbranch_execz .LBB9_121
; %bb.119:                              ;   in Loop: Header=BB9_118 Depth=3
	s_cmp_ge_i32 s66, s15
	s_cbranch_scc1 .LBB9_121
; %bb.120:                              ;   in Loop: Header=BB9_118 Depth=3
	s_lshl_b64 s[68:69], s[54:55], 1
	s_and_b32 s68, s68, -4
	v_lshl_add_u64 v[22:23], v[18:19], 0, s[68:69]
	flat_load_dword v22, v[22:23]
	v_mov_b32_e32 v23, s45
	ds_read_b32 v23, v23
	s_waitcnt vmcnt(0) lgkmcnt(0)
	v_fmac_f32_e32 v17, v22, v23
.LBB9_121:                              ;   in Loop: Header=BB9_118 Depth=3
	s_andn2_saveexec_b64 s[64:65], s[64:65]
	s_cbranch_execz .LBB9_123
; %bb.122:                              ;   in Loop: Header=BB9_118 Depth=3
	v_mov_b32_e32 v22, s45
	ds_read_b32 v22, v22
	s_waitcnt lgkmcnt(0)
	v_add_f32_e32 v17, v17, v22
.LBB9_123:                              ;   in Loop: Header=BB9_118 Depth=3
	s_or_b64 exec, exec, s[64:65]
	v_cmp_ne_u32_e32 vcc, s52, v16
	s_or_b64 s[62:63], s[62:63], vcc
	s_and_saveexec_b64 s[64:65], s[62:63]
	s_xor_b64 s[62:63], exec, s[64:65]
	s_cbranch_execz .LBB9_126
; %bb.124:                              ;   in Loop: Header=BB9_118 Depth=3
	s_add_i32 s66, s66, 1
	s_cmp_ge_i32 s66, s15
	s_cbranch_scc1 .LBB9_126
; %bb.125:                              ;   in Loop: Header=BB9_118 Depth=3
	s_lshl_b64 s[64:65], s[56:57], 1
	s_and_b32 s64, s64, -4
	v_lshl_add_u64 v[22:23], v[20:21], 0, s[64:65]
	flat_load_dword v22, v[22:23]
	v_mov_b32_e32 v23, s45
	ds_read_b32 v23, v23 offset:4
	s_waitcnt vmcnt(0) lgkmcnt(0)
	v_fmac_f32_e32 v17, v22, v23
.LBB9_126:                              ;   in Loop: Header=BB9_118 Depth=3
	s_andn2_saveexec_b64 s[62:63], s[62:63]
	s_cbranch_execz .LBB9_128
; %bb.127:                              ;   in Loop: Header=BB9_118 Depth=3
	v_mov_b32_e32 v22, s45
	ds_read_b32 v22, v22 offset:4
	s_waitcnt lgkmcnt(0)
	v_add_f32_e32 v17, v17, v22
.LBB9_128:                              ;   in Loop: Header=BB9_118 Depth=3
	s_or_b64 exec, exec, s[62:63]
	s_add_u32 s52, s52, 2
	s_addc_u32 s53, s53, 0
	s_add_u32 s62, s60, -8
	s_addc_u32 s63, s61, -1
	s_add_u32 s56, s56, s60
	s_addc_u32 s57, s57, s61
	s_add_i32 s45, s45, 8
	s_add_u32 s60, s58, -8
	s_addc_u32 s61, s59, -1
	s_add_u32 s54, s54, s58
	s_addc_u32 s55, s55, s59
	v_lshl_add_u64 v[20:21], v[20:21], 0, -8
	s_cmpk_eq_i32 s52, 0x200
	v_lshl_add_u64 v[18:19], v[18:19], 0, -8
	s_cbranch_scc1 .LBB9_114
; %bb.129:                              ;   in Loop: Header=BB9_118 Depth=3
	s_mov_b64 s[58:59], s[60:61]
	s_mov_b64 s[60:61], s[62:63]
	s_branch .LBB9_118
.LBB9_130:                              ;   in Loop: Header=BB9_98 Depth=1
	s_or_b64 exec, exec, s[46:47]
.LBB9_131:                              ;   in Loop: Header=BB9_98 Depth=1
	s_and_saveexec_b64 s[44:45], s[0:1]
	s_cbranch_execz .LBB9_97
; %bb.132:                              ;   in Loop: Header=BB9_98 Depth=1
	ds_read_b32 v9, v2
	v_mad_u64_u32 v[10:11], s[0:1], s6, v3, 0
	v_mov_b32_e32 v12, v11
	v_mad_u64_u32 v[12:13], s[0:1], s7, v3, v[12:13]
	v_mov_b32_e32 v11, v12
	v_lshl_add_u64 v[10:11], v[10:11], 2, s[12:13]
	s_waitcnt lgkmcnt(0)
	flat_store_dword v[10:11], v9
	s_branch .LBB9_97
.LBB9_133:
	s_mov_b64 s[0:1], 0
.LBB9_134:
	s_andn2_b64 vcc, exec, s[0:1]
	s_cbranch_vccnz .LBB9_180
; %bb.135:
	s_andn2_b64 vcc, exec, s[16:17]
	s_cbranch_vccnz .LBB9_180
; %bb.136:
	v_mov_b32_e32 v1, 0x800
	v_mov_b32_e32 v3, 0
	s_movk_i32 s26, 0xfe00
	s_add_i32 s45, s15, 0xfffffe00
	v_lshl_or_b32 v24, v0, 2, v1
	v_add_u32_e32 v25, 0xfffffe01, v0
	s_mov_b32 s33, 0
	s_mov_b32 s44, s15
	v_mov_b32_e32 v1, v3
	s_mov_b64 s[4:5], 0xfffffdfd
	s_mov_b64 s[14:15], 0xfffffdfe
	;; [unrolled: 1-line block ×4, first 2 shown]
	s_xor_b64 s[20:21], s[8:9], -1
	s_mov_b64 s[22:23], 0xfffffe02
	s_mov_b64 s[24:25], 0xfffffe03
	s_mov_b32 s27, -1
	s_branch .LBB9_138
.LBB9_137:                              ;   in Loop: Header=BB9_138 Depth=1
	s_or_b64 exec, exec, s[28:29]
	s_add_u32 s44, s44, 0xfffffe00
	s_addc_u32 s33, s33, -1
	s_and_b64 vcc, exec, s[2:3]
	s_mov_b32 s45, s46
	s_waitcnt lgkmcnt(0)
	s_barrier
	s_cbranch_vccnz .LBB9_180
.LBB9_138:                              ; =>This Loop Header: Depth=1
                                        ;     Child Loop BB9_143 Depth 2
                                        ;     Child Loop BB9_158 Depth 2
                                        ;       Child Loop BB9_161 Depth 3
	v_add_u32_e32 v4, s45, v0
	v_cmp_gt_i32_e32 vcc, 0, v4
	v_cmp_lt_i32_e64 s[0:1], -1, v4
	v_mov_b32_e32 v5, v3
	s_and_saveexec_b64 s[2:3], s[0:1]
	s_cbranch_execz .LBB9_140
; %bb.139:                              ;   in Loop: Header=BB9_138 Depth=1
	v_mad_u64_u32 v[6:7], s[28:29], s6, v4, 0
	v_mov_b32_e32 v2, v7
	v_mad_u64_u32 v[8:9], s[28:29], s7, v4, v[2:3]
	v_mov_b32_e32 v7, v8
	v_lshl_add_u64 v[6:7], v[6:7], 2, s[12:13]
	flat_load_dword v2, v[6:7]
	s_waitcnt vmcnt(0) lgkmcnt(0)
	ds_write_b32 v24, v2
.LBB9_140:                              ;   in Loop: Header=BB9_138 Depth=1
	s_or_b64 exec, exec, s[2:3]
	v_add_u32_e32 v2, 1, v4
	v_mad_u64_u32 v[8:9], s[2:3], v4, v2, 0
	v_lshlrev_b64 v[8:9], 1, v[8:9]
	v_ashrrev_i32_e32 v7, 31, v4
	v_mov_b32_e32 v6, v4
	v_lshl_add_u64 v[10:11], v[4:5], 2, s[10:11]
	v_and_b32_e32 v8, -4, v8
	s_or_b64 s[2:3], s[8:9], vcc
	v_lshl_add_u64 v[6:7], v[6:7], 2, s[10:11]
	v_lshl_add_u64 v[8:9], v[10:11], 0, v[8:9]
	s_movk_i32 s34, 0x1ff
	s_movk_i32 s35, 0xff8
	v_mov_b32_e32 v5, s44
	s_xor_b64 s[28:29], s[2:3], -1
	v_mov_b32_e32 v2, v25
	s_waitcnt lgkmcnt(0)
	s_barrier
	s_branch .LBB9_143
.LBB9_141:                              ;   in Loop: Header=BB9_143 Depth=2
	s_or_b64 exec, exec, s[30:31]
	v_mov_b32_e32 v5, v11
.LBB9_142:                              ;   in Loop: Header=BB9_143 Depth=2
	s_or_b64 exec, exec, s[2:3]
	s_add_i32 s34, s34, -2
	s_add_i32 s35, s35, -8
	s_cmp_eq_u32 s36, 0
	v_add_u32_e32 v2, 2, v2
	s_cbranch_scc1 .LBB9_154
.LBB9_143:                              ;   Parent Loop BB9_138 Depth=1
                                        ; =>  This Inner Loop Header: Depth=2
	v_cmp_eq_u32_e32 vcc, 0, v2
	s_and_b64 s[30:31], vcc, s[28:29]
	s_and_saveexec_b64 s[2:3], s[30:31]
	s_cbranch_execz .LBB9_145
; %bb.144:                              ;   in Loop: Header=BB9_143 Depth=2
	flat_load_dword v10, v[8:9]
	ds_read_b32 v11, v24
	s_waitcnt vmcnt(0) lgkmcnt(0)
	v_div_scale_f32 v12, s[30:31], v10, v10, v11
	v_rcp_f32_e32 v13, v12
	v_div_scale_f32 v14, vcc, v11, v10, v11
	v_fma_f32 v15, -v12, v13, 1.0
	v_fmac_f32_e32 v13, v15, v13
	v_mul_f32_e32 v15, v14, v13
	v_fma_f32 v16, -v12, v15, v14
	v_fmac_f32_e32 v15, v16, v13
	v_fma_f32 v12, -v12, v15, v14
	v_div_fmas_f32 v12, v12, v13, v15
	v_div_fixup_f32 v10, v12, v10, v11
	ds_write_b32 v24, v10
.LBB9_145:                              ;   in Loop: Header=BB9_143 Depth=2
	s_or_b64 exec, exec, s[2:3]
	v_add_u32_e32 v10, -1, v5
	v_or_b32_e32 v11, v4, v10
	v_cmp_gt_u32_e32 vcc, s34, v0
	v_cmp_lt_i32_e64 s[2:3], -1, v11
	s_and_b64 s[30:31], vcc, s[2:3]
	s_waitcnt lgkmcnt(0)
	s_barrier
	s_and_saveexec_b64 s[2:3], s[30:31]
	s_cbranch_execz .LBB9_147
; %bb.146:                              ;   in Loop: Header=BB9_143 Depth=2
	v_mad_u64_u32 v[12:13], s[30:31], v5, v10, 0
	v_lshlrev_b64 v[12:13], 1, v[12:13]
	v_and_b32_e32 v12, -4, v12
	v_lshl_add_u64 v[12:13], v[6:7], 0, v[12:13]
	flat_load_dword v11, v[12:13]
	v_mov_b32_e32 v12, s35
	ds_read_b32 v12, v12 offset:4
	ds_read_b32 v13, v24
	s_waitcnt vmcnt(0) lgkmcnt(0)
	v_fma_f32 v11, -v11, v12, v13
	ds_write_b32 v24, v11
.LBB9_147:                              ;   in Loop: Header=BB9_143 Depth=2
	s_or_b64 exec, exec, s[2:3]
	s_add_i32 s36, s34, -1
	v_cmp_eq_u32_e32 vcc, s36, v0
	s_and_b64 s[30:31], vcc, s[28:29]
	s_and_saveexec_b64 s[2:3], s[30:31]
	s_cbranch_execz .LBB9_149
; %bb.148:                              ;   in Loop: Header=BB9_143 Depth=2
	flat_load_dword v11, v[8:9]
	ds_read_b32 v12, v24
	s_waitcnt vmcnt(0) lgkmcnt(0)
	v_div_scale_f32 v13, s[30:31], v11, v11, v12
	v_rcp_f32_e32 v14, v13
	v_div_scale_f32 v15, vcc, v12, v11, v12
	v_fma_f32 v16, -v13, v14, 1.0
	v_fmac_f32_e32 v14, v16, v14
	v_mul_f32_e32 v16, v15, v14
	v_fma_f32 v17, -v13, v16, v15
	v_fmac_f32_e32 v16, v17, v14
	v_fma_f32 v13, -v13, v16, v15
	v_div_fmas_f32 v13, v13, v14, v16
	v_div_fixup_f32 v11, v13, v11, v12
	ds_write_b32 v24, v11
.LBB9_149:                              ;   in Loop: Header=BB9_143 Depth=2
	s_or_b64 exec, exec, s[2:3]
	v_cmp_le_u32_e32 vcc, s36, v0
	v_add_u32_e32 v11, -2, v5
	s_waitcnt lgkmcnt(0)
	s_barrier
	s_and_saveexec_b64 s[2:3], vcc
	s_xor_b64 s[2:3], exec, s[2:3]
; %bb.150:                              ;   in Loop: Header=BB9_143 Depth=2
	v_add_u32_e32 v5, -2, v5
                                        ; implicit-def: $vgpr11
                                        ; implicit-def: $vgpr10
; %bb.151:                              ;   in Loop: Header=BB9_143 Depth=2
	s_andn2_saveexec_b64 s[2:3], s[2:3]
	s_cbranch_execz .LBB9_142
; %bb.152:                              ;   in Loop: Header=BB9_143 Depth=2
	v_or_b32_e32 v5, v4, v11
	v_cmp_lt_i32_e32 vcc, -1, v5
	s_and_saveexec_b64 s[30:31], vcc
	s_cbranch_execz .LBB9_141
; %bb.153:                              ;   in Loop: Header=BB9_143 Depth=2
	v_mad_u64_u32 v[12:13], s[38:39], v10, v11, 0
	v_lshlrev_b64 v[12:13], 1, v[12:13]
	v_and_b32_e32 v12, -4, v12
	v_lshl_add_u64 v[12:13], v[6:7], 0, v[12:13]
	flat_load_dword v5, v[12:13]
	v_mov_b32_e32 v10, s35
	ds_read_b32 v10, v10
	ds_read_b32 v12, v24
	s_waitcnt vmcnt(0) lgkmcnt(0)
	v_fma_f32 v5, -v5, v10, v12
	ds_write_b32 v24, v5
	s_branch .LBB9_141
.LBB9_154:                              ;   in Loop: Header=BB9_138 Depth=1
	s_add_i32 s46, s45, 0xfffffe00
	s_cmp_lt_i32 s45, 1
	s_cselect_b64 s[2:3], -1, 0
	s_and_b64 vcc, exec, s[2:3]
	s_waitcnt lgkmcnt(0)
	s_barrier
	s_cbranch_vccnz .LBB9_178
; %bb.155:                              ;   in Loop: Header=BB9_138 Depth=1
	s_mov_b64 s[28:29], 0
	v_mov_b64_e32 v[6:7], v[0:1]
	s_mov_b32 s47, s46
                                        ; implicit-def: $sgpr30_sgpr31
	s_branch .LBB9_158
.LBB9_156:                              ;   in Loop: Header=BB9_158 Depth=2
	v_mad_u64_u32 v[8:9], s[36:37], s6, v2, 0
	v_mov_b32_e32 v10, v9
	v_mad_u64_u32 v[10:11], s[36:37], s7, v2, v[10:11]
	v_mov_b32_e32 v9, v10
	v_lshl_add_u64 v[8:9], v[8:9], 2, s[12:13]
	flat_load_dword v2, v[8:9]
	s_add_i32 s38, s47, 0xfffffe00
	s_cmp_lt_i32 s47, 1
	s_cselect_b64 s[36:37], -1, 0
	s_andn2_b64 s[30:31], s[30:31], exec
	s_and_b64 s[36:37], s[36:37], exec
	v_lshl_add_u64 v[6:7], v[6:7], 0, s[26:27]
	s_or_b64 s[30:31], s[30:31], s[36:37]
	s_mov_b32 s47, s38
	s_waitcnt vmcnt(0) lgkmcnt(0)
	v_sub_f32_e32 v2, v2, v5
	flat_store_dword v[8:9], v2
.LBB9_157:                              ;   in Loop: Header=BB9_158 Depth=2
	s_or_b64 exec, exec, s[34:35]
	s_and_b64 s[34:35], exec, s[30:31]
	s_or_b64 s[28:29], s[34:35], s[28:29]
	s_andn2_b64 exec, exec, s[28:29]
	s_cbranch_execz .LBB9_177
.LBB9_158:                              ;   Parent Loop BB9_138 Depth=1
                                        ; =>  This Loop Header: Depth=2
                                        ;       Child Loop BB9_161 Depth 3
	v_add_u32_e32 v2, s47, v0
	v_cmp_lt_i32_e32 vcc, -1, v2
	s_or_b64 s[30:31], s[30:31], exec
	s_and_saveexec_b64 s[34:35], vcc
	s_cbranch_execz .LBB9_157
; %bb.159:                              ;   in Loop: Header=BB9_158 Depth=2
	v_lshl_add_u64 v[8:9], v[2:3], 2, s[10:11]
	v_lshl_add_u64 v[10:11], v[6:7], 0, s[4:5]
	;; [unrolled: 1-line block ×5, first 2 shown]
	v_mov_b32_e32 v5, 0
	s_movk_i32 s48, 0x800
	s_mov_b64 s[36:37], 0
	s_branch .LBB9_161
.LBB9_160:                              ;   in Loop: Header=BB9_161 Depth=3
	s_or_b64 exec, exec, s[38:39]
	s_waitcnt lgkmcnt(0)
	v_add_f32_e32 v5, v5, v11
	s_add_i32 s48, s48, 16
	v_add_f32_e32 v5, v5, v13
	s_add_u32 s36, s36, 4
	v_add_f32_e32 v5, v5, v15
	s_addc_u32 s37, s37, 0
	s_cmpk_eq_i32 s36, 0x200
	v_add_f32_e32 v5, v5, v17
	s_cbranch_scc1 .LBB9_156
.LBB9_161:                              ;   Parent Loop BB9_138 Depth=1
                                        ;     Parent Loop BB9_158 Depth=2
                                        ; =>    This Inner Loop Header: Depth=3
	v_cmp_ne_u32_e32 vcc, s36, v16
	s_or_b64 s[42:43], s[20:21], vcc
                                        ; implicit-def: $vgpr11
                                        ; implicit-def: $sgpr38_sgpr39
                                        ; implicit-def: $sgpr40_sgpr41
	s_and_saveexec_b64 s[50:51], s[42:43]
	s_xor_b64 s[42:43], exec, s[50:51]
	s_cbranch_execz .LBB9_163
; %bb.162:                              ;   in Loop: Header=BB9_161 Depth=3
	s_add_u32 s38, s44, s36
	s_addc_u32 s39, s33, s37
	s_add_u32 s40, s38, 0xfffffe01
	s_addc_u32 s41, s39, 0
	;; [unrolled: 2-line block ×3, first 2 shown]
	s_mul_i32 s50, s40, s50
	s_mul_hi_u32 s51, s40, s49
	s_add_i32 s51, s51, s50
	s_mul_i32 s50, s40, s49
	s_lshl_b64 s[50:51], s[50:51], 1
	s_and_b32 s50, s50, -4
	v_lshl_add_u64 v[18:19], v[8:9], 0, s[50:51]
	flat_load_dword v11, v[18:19]
	v_mov_b32_e32 v13, s48
	ds_read_b32 v13, v13
	s_waitcnt vmcnt(0) lgkmcnt(0)
	v_mul_f32_e32 v11, v11, v13
.LBB9_163:                              ;   in Loop: Header=BB9_161 Depth=3
	s_or_saveexec_b64 s[42:43], s[42:43]
	v_mov_b64_e32 v[22:23], s[40:41]
	v_mov_b64_e32 v[18:19], s[38:39]
	s_xor_b64 exec, exec, s[42:43]
	s_cbranch_execz .LBB9_165
; %bb.164:                              ;   in Loop: Header=BB9_161 Depth=3
	v_mov_b32_e32 v11, s48
	ds_read_b32 v11, v11
	s_add_u32 s38, s44, s36
	s_addc_u32 s39, s33, s37
	s_add_u32 s40, s38, 0xfffffe01
	s_addc_u32 s41, s39, 0
	v_mov_b64_e32 v[22:23], s[40:41]
	v_mov_b64_e32 v[18:19], s[38:39]
.LBB9_165:                              ;   in Loop: Header=BB9_161 Depth=3
	s_or_b64 exec, exec, s[42:43]
	v_cmp_ne_u32_e32 vcc, s36, v14
	s_or_b64 s[38:39], s[20:21], vcc
	v_lshl_add_u64 v[20:21], v[18:19], 0, s[22:23]
                                        ; implicit-def: $vgpr13
	s_and_saveexec_b64 s[40:41], s[38:39]
	s_xor_b64 s[38:39], exec, s[40:41]
	s_cbranch_execz .LBB9_167
; %bb.166:                              ;   in Loop: Header=BB9_161 Depth=3
	v_lshl_add_u64 v[20:21], v[18:19], 0, s[22:23]
	v_mad_u64_u32 v[22:23], s[40:41], v20, v22, 0
	v_lshlrev_b64 v[22:23], 1, v[22:23]
	v_and_b32_e32 v22, -4, v22
	v_lshl_add_u64 v[22:23], v[8:9], 0, v[22:23]
	flat_load_dword v13, v[22:23]
	v_mov_b32_e32 v15, s48
	ds_read_b32 v15, v15 offset:4
	s_waitcnt vmcnt(0) lgkmcnt(0)
	v_mul_f32_e32 v13, v13, v15
.LBB9_167:                              ;   in Loop: Header=BB9_161 Depth=3
	s_andn2_saveexec_b64 s[38:39], s[38:39]
; %bb.168:                              ;   in Loop: Header=BB9_161 Depth=3
	v_mov_b32_e32 v13, s48
	ds_read_b32 v13, v13 offset:4
; %bb.169:                              ;   in Loop: Header=BB9_161 Depth=3
	s_or_b64 exec, exec, s[38:39]
	v_cmp_ne_u32_e32 vcc, s36, v12
	s_or_b64 s[38:39], s[20:21], vcc
	v_lshl_add_u64 v[22:23], v[18:19], 0, s[24:25]
                                        ; implicit-def: $vgpr15
	s_and_saveexec_b64 s[40:41], s[38:39]
	s_xor_b64 s[38:39], exec, s[40:41]
	s_cbranch_execz .LBB9_171
; %bb.170:                              ;   in Loop: Header=BB9_161 Depth=3
	v_lshl_add_u64 v[22:23], v[18:19], 0, s[24:25]
	v_mad_u64_u32 v[20:21], s[40:41], v22, v20, 0
	v_lshlrev_b64 v[20:21], 1, v[20:21]
	v_and_b32_e32 v20, -4, v20
	v_lshl_add_u64 v[20:21], v[8:9], 0, v[20:21]
	flat_load_dword v15, v[20:21]
	v_mov_b32_e32 v17, s48
	ds_read_b32 v17, v17 offset:8
	s_waitcnt vmcnt(0) lgkmcnt(0)
	v_mul_f32_e32 v15, v15, v17
.LBB9_171:                              ;   in Loop: Header=BB9_161 Depth=3
	s_andn2_saveexec_b64 s[38:39], s[38:39]
; %bb.172:                              ;   in Loop: Header=BB9_161 Depth=3
	v_mov_b32_e32 v15, s48
	ds_read_b32 v15, v15 offset:8
; %bb.173:                              ;   in Loop: Header=BB9_161 Depth=3
	s_or_b64 exec, exec, s[38:39]
	v_cmp_ne_u32_e32 vcc, s36, v10
	s_or_b64 s[38:39], s[20:21], vcc
                                        ; implicit-def: $vgpr17
	s_and_saveexec_b64 s[40:41], s[38:39]
	s_xor_b64 s[38:39], exec, s[40:41]
	s_cbranch_execz .LBB9_175
; %bb.174:                              ;   in Loop: Header=BB9_161 Depth=3
	v_add_u32_e32 v17, 0xfffffe04, v18
	v_mad_u64_u32 v[18:19], s[40:41], v17, v22, 0
	v_lshlrev_b64 v[18:19], 1, v[18:19]
	v_and_b32_e32 v18, -4, v18
	v_lshl_add_u64 v[18:19], v[8:9], 0, v[18:19]
	flat_load_dword v17, v[18:19]
	v_mov_b32_e32 v18, s48
	ds_read_b32 v18, v18 offset:12
	s_waitcnt vmcnt(0) lgkmcnt(0)
	v_mul_f32_e32 v17, v17, v18
.LBB9_175:                              ;   in Loop: Header=BB9_161 Depth=3
	s_andn2_saveexec_b64 s[38:39], s[38:39]
	s_cbranch_execz .LBB9_160
; %bb.176:                              ;   in Loop: Header=BB9_161 Depth=3
	v_mov_b32_e32 v17, s48
	ds_read_b32 v17, v17 offset:12
	s_branch .LBB9_160
.LBB9_177:                              ;   in Loop: Header=BB9_138 Depth=1
	s_or_b64 exec, exec, s[28:29]
.LBB9_178:                              ;   in Loop: Header=BB9_138 Depth=1
	s_and_saveexec_b64 s[28:29], s[0:1]
	s_cbranch_execz .LBB9_137
; %bb.179:                              ;   in Loop: Header=BB9_138 Depth=1
	ds_read_b32 v8, v24
	v_mad_u64_u32 v[6:7], s[0:1], s6, v4, 0
	v_mov_b32_e32 v2, v7
	v_mad_u64_u32 v[4:5], s[0:1], s7, v4, v[2:3]
	v_mov_b32_e32 v7, v4
	v_lshl_add_u64 v[4:5], v[6:7], 2, s[12:13]
	s_waitcnt lgkmcnt(0)
	flat_store_dword v[4:5], v8
	s_branch .LBB9_137
.LBB9_180:
	s_endpgm
	.section	.rodata,"a",@progbits
	.p2align	6, 0x0
	.amdhsa_kernel _ZL19rocblas_tpsv_kernelILb0ELi512EPKPKfPKPfEv18rocblas_operation_bbiT1_llT2_lll
		.amdhsa_group_segment_fixed_size 4096
		.amdhsa_private_segment_fixed_size 0
		.amdhsa_kernarg_size 72
		.amdhsa_user_sgpr_count 2
		.amdhsa_user_sgpr_dispatch_ptr 0
		.amdhsa_user_sgpr_queue_ptr 0
		.amdhsa_user_sgpr_kernarg_segment_ptr 1
		.amdhsa_user_sgpr_dispatch_id 0
		.amdhsa_user_sgpr_kernarg_preload_length 0
		.amdhsa_user_sgpr_kernarg_preload_offset 0
		.amdhsa_user_sgpr_private_segment_size 0
		.amdhsa_uses_dynamic_stack 0
		.amdhsa_enable_private_segment 0
		.amdhsa_system_sgpr_workgroup_id_x 1
		.amdhsa_system_sgpr_workgroup_id_y 0
		.amdhsa_system_sgpr_workgroup_id_z 0
		.amdhsa_system_sgpr_workgroup_info 0
		.amdhsa_system_vgpr_workitem_id 0
		.amdhsa_next_free_vgpr 26
		.amdhsa_next_free_sgpr 70
		.amdhsa_accum_offset 28
		.amdhsa_reserve_vcc 1
		.amdhsa_float_round_mode_32 0
		.amdhsa_float_round_mode_16_64 0
		.amdhsa_float_denorm_mode_32 3
		.amdhsa_float_denorm_mode_16_64 3
		.amdhsa_dx10_clamp 1
		.amdhsa_ieee_mode 1
		.amdhsa_fp16_overflow 0
		.amdhsa_tg_split 0
		.amdhsa_exception_fp_ieee_invalid_op 0
		.amdhsa_exception_fp_denorm_src 0
		.amdhsa_exception_fp_ieee_div_zero 0
		.amdhsa_exception_fp_ieee_overflow 0
		.amdhsa_exception_fp_ieee_underflow 0
		.amdhsa_exception_fp_ieee_inexact 0
		.amdhsa_exception_int_div_zero 0
	.end_amdhsa_kernel
	.section	.text._ZL19rocblas_tpsv_kernelILb0ELi512EPKPKfPKPfEv18rocblas_operation_bbiT1_llT2_lll,"axG",@progbits,_ZL19rocblas_tpsv_kernelILb0ELi512EPKPKfPKPfEv18rocblas_operation_bbiT1_llT2_lll,comdat
.Lfunc_end9:
	.size	_ZL19rocblas_tpsv_kernelILb0ELi512EPKPKfPKPfEv18rocblas_operation_bbiT1_llT2_lll, .Lfunc_end9-_ZL19rocblas_tpsv_kernelILb0ELi512EPKPKfPKPfEv18rocblas_operation_bbiT1_llT2_lll
                                        ; -- End function
	.set _ZL19rocblas_tpsv_kernelILb0ELi512EPKPKfPKPfEv18rocblas_operation_bbiT1_llT2_lll.num_vgpr, 26
	.set _ZL19rocblas_tpsv_kernelILb0ELi512EPKPKfPKPfEv18rocblas_operation_bbiT1_llT2_lll.num_agpr, 0
	.set _ZL19rocblas_tpsv_kernelILb0ELi512EPKPKfPKPfEv18rocblas_operation_bbiT1_llT2_lll.numbered_sgpr, 70
	.set _ZL19rocblas_tpsv_kernelILb0ELi512EPKPKfPKPfEv18rocblas_operation_bbiT1_llT2_lll.num_named_barrier, 0
	.set _ZL19rocblas_tpsv_kernelILb0ELi512EPKPKfPKPfEv18rocblas_operation_bbiT1_llT2_lll.private_seg_size, 0
	.set _ZL19rocblas_tpsv_kernelILb0ELi512EPKPKfPKPfEv18rocblas_operation_bbiT1_llT2_lll.uses_vcc, 1
	.set _ZL19rocblas_tpsv_kernelILb0ELi512EPKPKfPKPfEv18rocblas_operation_bbiT1_llT2_lll.uses_flat_scratch, 0
	.set _ZL19rocblas_tpsv_kernelILb0ELi512EPKPKfPKPfEv18rocblas_operation_bbiT1_llT2_lll.has_dyn_sized_stack, 0
	.set _ZL19rocblas_tpsv_kernelILb0ELi512EPKPKfPKPfEv18rocblas_operation_bbiT1_llT2_lll.has_recursion, 0
	.set _ZL19rocblas_tpsv_kernelILb0ELi512EPKPKfPKPfEv18rocblas_operation_bbiT1_llT2_lll.has_indirect_call, 0
	.section	.AMDGPU.csdata,"",@progbits
; Kernel info:
; codeLenInByte = 6724
; TotalNumSgprs: 76
; NumVgprs: 26
; NumAgprs: 0
; TotalNumVgprs: 26
; ScratchSize: 0
; MemoryBound: 0
; FloatMode: 240
; IeeeMode: 1
; LDSByteSize: 4096 bytes/workgroup (compile time only)
; SGPRBlocks: 9
; VGPRBlocks: 3
; NumSGPRsForWavesPerEU: 76
; NumVGPRsForWavesPerEU: 26
; AccumOffset: 28
; Occupancy: 8
; WaveLimiterHint : 1
; COMPUTE_PGM_RSRC2:SCRATCH_EN: 0
; COMPUTE_PGM_RSRC2:USER_SGPR: 2
; COMPUTE_PGM_RSRC2:TRAP_HANDLER: 0
; COMPUTE_PGM_RSRC2:TGID_X_EN: 1
; COMPUTE_PGM_RSRC2:TGID_Y_EN: 0
; COMPUTE_PGM_RSRC2:TGID_Z_EN: 0
; COMPUTE_PGM_RSRC2:TIDIG_COMP_CNT: 0
; COMPUTE_PGM_RSRC3_GFX90A:ACCUM_OFFSET: 6
; COMPUTE_PGM_RSRC3_GFX90A:TG_SPLIT: 0
	.section	.text._ZL19rocblas_tpsv_kernelILb1ELi512EPKPKdPKPdEv18rocblas_operation_bbiT1_llT2_lll,"axG",@progbits,_ZL19rocblas_tpsv_kernelILb1ELi512EPKPKdPKPdEv18rocblas_operation_bbiT1_llT2_lll,comdat
	.globl	_ZL19rocblas_tpsv_kernelILb1ELi512EPKPKdPKPdEv18rocblas_operation_bbiT1_llT2_lll ; -- Begin function _ZL19rocblas_tpsv_kernelILb1ELi512EPKPKdPKPdEv18rocblas_operation_bbiT1_llT2_lll
	.p2align	8
	.type	_ZL19rocblas_tpsv_kernelILb1ELi512EPKPKdPKPdEv18rocblas_operation_bbiT1_llT2_lll,@function
_ZL19rocblas_tpsv_kernelILb1ELi512EPKPKdPKPdEv18rocblas_operation_bbiT1_llT2_lll: ; @_ZL19rocblas_tpsv_kernelILb1ELi512EPKPKdPKPdEv18rocblas_operation_bbiT1_llT2_lll
; %bb.0:
	s_load_dwordx2 s[22:23], s[0:1], 0x0
	s_load_dwordx2 s[12:13], s[0:1], 0x4
	s_load_dwordx4 s[16:19], s[0:1], 0x10
	s_load_dwordx2 s[14:15], s[0:1], 0x28
	s_mov_b32 s3, 0
	s_waitcnt lgkmcnt(0)
	s_bitcmp1_b32 s23, 0
	s_cselect_b64 s[4:5], -1, 0
	s_xor_b64 s[20:21], s[4:5], -1
	s_bitcmp1_b32 s12, 8
	s_cselect_b64 s[8:9], -1, 0
	s_lshl_b64 s[2:3], s[2:3], 3
	s_add_u32 s10, s16, s2
	s_addc_u32 s11, s17, s3
	s_load_dwordx2 s[16:17], s[10:11], 0x0
	s_load_dwordx4 s[4:7], s[0:1], 0x30
	s_lshl_b64 s[18:19], s[18:19], 3
	s_waitcnt lgkmcnt(0)
	s_add_u32 s10, s16, s18
	s_addc_u32 s11, s17, s19
	s_add_u32 s0, s14, s2
	s_addc_u32 s1, s15, s3
	s_load_dwordx2 s[0:1], s[0:1], 0x0
	s_lshl_b64 s[2:3], s[4:5], 3
	s_waitcnt lgkmcnt(0)
	s_add_u32 s4, s0, s2
	s_addc_u32 s5, s1, s3
	s_cmp_gt_i32 s13, 0
	s_cselect_b64 s[14:15], -1, 0
	s_cmpk_lg_i32 s22, 0x6f
	s_mov_b64 s[0:1], -1
	s_cbranch_scc0 .LBB10_93
; %bb.1:
	s_and_b64 vcc, exec, s[20:21]
	s_cbranch_vccz .LBB10_44
; %bb.2:
	s_andn2_b64 vcc, exec, s[14:15]
	s_cbranch_vccnz .LBB10_43
; %bb.3:
	v_lshlrev_b32_e32 v2, 3, v0
	v_or_b32_e32 v1, 0x3000, v2
	v_mov_b32_e32 v3, s19
	v_sub_co_u32_e32 v2, vcc, s18, v2
	s_mov_b64 s[0:1], 0xff8
	s_nop 0
	v_subbrev_co_u32_e32 v3, vcc, 0, v3, vcc
	v_lshl_add_u64 v[2:3], s[16:17], 0, v[2:3]
	s_lshl_b32 s22, s13, 1
	v_lshl_add_u64 v[2:3], v[2:3], 0, s[0:1]
	s_ashr_i32 s1, s13, 31
	s_mov_b32 s0, s13
	s_add_i32 s36, s13, 0xfffffe00
	s_or_b32 s12, s22, 1
	s_lshl_b64 s[0:1], s[0:1], 3
	s_add_u32 s0, s18, s0
	s_addc_u32 s1, s19, s1
	s_add_u32 s0, s16, s0
	v_sub_u32_e32 v4, s13, v0
	s_addc_u32 s1, s17, s1
	v_add_u32_e32 v20, 0x201, v4
	v_add_u32_e32 v4, s13, v0
	s_add_u32 s2, s0, 0xfffff000
	v_add_u32_e32 v21, 0xfffffe00, v4
	v_add_u32_e32 v22, 0xfffffe01, v0
	s_addc_u32 s3, s1, -1
	v_add_u32_e32 v23, 0xfffffc00, v4
	s_ashr_i32 s33, s22, 31
	s_movk_i32 s40, 0x400
	s_movk_i32 s41, 0x401
	;; [unrolled: 1-line block ×4, first 2 shown]
	s_mov_b64 s[22:23], 0x1000
	s_mov_b64 s[24:25], 0x200
	s_xor_b64 s[26:27], s[8:9], -1
	s_branch .LBB10_5
.LBB10_4:                               ;   in Loop: Header=BB10_5 Depth=1
	s_or_b64 exec, exec, s[30:31]
	s_add_u32 s2, s2, 0xfffff000
	v_add_u32_e32 v20, 0x200, v20
	v_add_u32_e32 v21, 0xfffffe00, v21
	s_addc_u32 s3, s3, -1
	v_add_u32_e32 v23, 0xfffffe00, v23
	s_andn2_b64 vcc, exec, s[28:29]
	s_mov_b32 s36, s44
	s_waitcnt lgkmcnt(0)
	s_barrier
	s_cbranch_vccz .LBB10_43
.LBB10_5:                               ; =>This Loop Header: Depth=1
                                        ;     Child Loop BB10_9 Depth 2
                                        ;     Child Loop BB10_21 Depth 2
                                        ;       Child Loop BB10_24 Depth 3
	v_add_u32_e32 v24, s36, v0
	v_cmp_gt_i32_e32 vcc, 0, v24
	v_cmp_lt_i32_e64 s[0:1], -1, v24
	s_and_saveexec_b64 s[28:29], s[0:1]
	s_cbranch_execz .LBB10_7
; %bb.6:                                ;   in Loop: Header=BB10_5 Depth=1
	v_mad_u64_u32 v[4:5], s[30:31], s6, v24, 0
	v_mov_b32_e32 v6, v5
	v_mad_u64_u32 v[6:7], s[30:31], s7, v24, v[6:7]
	v_mov_b32_e32 v5, v6
	v_lshl_add_u64 v[4:5], v[4:5], 3, s[4:5]
	flat_load_dwordx2 v[4:5], v[4:5]
	s_waitcnt vmcnt(0) lgkmcnt(0)
	ds_write_b64 v1, v[4:5]
.LBB10_7:                               ;   in Loop: Header=BB10_5 Depth=1
	s_or_b64 exec, exec, s[28:29]
	v_mad_u64_u32 v[4:5], s[28:29], v20, v21, 0
	v_ashrrev_i32_e32 v7, 31, v20
	v_mov_b32_e32 v6, v5
	v_mad_u64_u32 v[6:7], s[28:29], v7, v21, v[6:7]
	v_mov_b32_e32 v5, v6
	s_not_b32 s28, s36
	v_sub_u32_e32 v6, s12, v24
	v_max_i32_e32 v8, s28, v0
	v_ashrrev_i32_e32 v9, 31, v6
	v_mad_u64_u32 v[6:7], s[28:29], v6, v24, 0
	v_mov_b32_e32 v10, v7
	v_mad_u64_u32 v[10:11], s[28:29], v9, v24, v[10:11]
	v_mov_b32_e32 v7, v10
	v_lshlrev_b64 v[4:5], 2, v[4:5]
	v_lshlrev_b64 v[6:7], 2, v[6:7]
	v_and_b32_e32 v4, -8, v4
	v_and_b32_e32 v6, -8, v6
	s_or_b64 s[28:29], vcc, s[8:9]
	v_lshl_add_u64 v[4:5], v[2:3], 0, v[4:5]
	v_lshl_add_u64 v[6:7], s[10:11], 0, v[6:7]
	s_movk_i32 s37, 0x1ff
	s_movk_i32 s38, 0x3ff0
	s_xor_b64 s[28:29], s[28:29], -1
	s_xor_b64 s[30:31], vcc, -1
	v_mov_b32_e32 v9, v22
	s_waitcnt lgkmcnt(0)
	s_barrier
	s_branch .LBB10_9
.LBB10_8:                               ;   in Loop: Header=BB10_9 Depth=2
	s_or_b64 exec, exec, s[34:35]
	s_add_i32 s37, s37, -2
	s_add_i32 s38, s38, -16
	v_lshl_add_u64 v[4:5], v[4:5], 0, -16
	s_cmp_eq_u32 s39, 0
	v_add_u32_e32 v9, 2, v9
	s_cbranch_scc1 .LBB10_17
.LBB10_9:                               ;   Parent Loop BB10_5 Depth=1
                                        ; =>  This Inner Loop Header: Depth=2
	v_cmp_eq_u32_e32 vcc, 0, v9
	s_and_b64 s[44:45], vcc, s[28:29]
	s_and_saveexec_b64 s[34:35], s[44:45]
	s_cbranch_execz .LBB10_11
; %bb.10:                               ;   in Loop: Header=BB10_9 Depth=2
	flat_load_dwordx2 v[10:11], v[6:7]
	ds_read_b64 v[12:13], v1
	s_waitcnt vmcnt(0) lgkmcnt(0)
	v_div_scale_f64 v[14:15], s[44:45], v[10:11], v[10:11], v[12:13]
	v_rcp_f64_e32 v[16:17], v[14:15]
	v_div_scale_f64 v[18:19], vcc, v[12:13], v[10:11], v[12:13]
	v_fma_f64 v[26:27], -v[14:15], v[16:17], 1.0
	v_fmac_f64_e32 v[16:17], v[16:17], v[26:27]
	v_fma_f64 v[26:27], -v[14:15], v[16:17], 1.0
	v_fmac_f64_e32 v[16:17], v[16:17], v[26:27]
	v_mul_f64 v[26:27], v[18:19], v[16:17]
	v_fma_f64 v[14:15], -v[14:15], v[26:27], v[18:19]
	v_div_fmas_f64 v[14:15], v[14:15], v[16:17], v[26:27]
	v_div_fixup_f64 v[10:11], v[14:15], v[10:11], v[12:13]
	ds_write_b64 v1, v[10:11]
.LBB10_11:                              ;   in Loop: Header=BB10_9 Depth=2
	s_or_b64 exec, exec, s[34:35]
	v_cmp_gt_u32_e32 vcc, s37, v8
	s_and_b64 s[44:45], s[30:31], vcc
	s_waitcnt lgkmcnt(0)
	s_barrier
	s_and_saveexec_b64 s[34:35], s[44:45]
	s_cbranch_execz .LBB10_13
; %bb.12:                               ;   in Loop: Header=BB10_9 Depth=2
	flat_load_dwordx2 v[10:11], v[4:5]
	v_mov_b32_e32 v12, s38
	ds_read_b64 v[12:13], v12 offset:8
	ds_read_b64 v[14:15], v1
	s_waitcnt vmcnt(0) lgkmcnt(0)
	v_fma_f64 v[10:11], -v[10:11], v[12:13], v[14:15]
	ds_write_b64 v1, v[10:11]
.LBB10_13:                              ;   in Loop: Header=BB10_9 Depth=2
	s_or_b64 exec, exec, s[34:35]
	s_add_i32 s39, s37, -1
	v_cmp_eq_u32_e32 vcc, s39, v0
	s_and_b64 s[44:45], vcc, s[28:29]
	s_and_saveexec_b64 s[34:35], s[44:45]
	s_cbranch_execz .LBB10_15
; %bb.14:                               ;   in Loop: Header=BB10_9 Depth=2
	flat_load_dwordx2 v[10:11], v[6:7]
	ds_read_b64 v[12:13], v1
	s_waitcnt vmcnt(0) lgkmcnt(0)
	v_div_scale_f64 v[14:15], s[44:45], v[10:11], v[10:11], v[12:13]
	v_rcp_f64_e32 v[16:17], v[14:15]
	v_div_scale_f64 v[18:19], vcc, v[12:13], v[10:11], v[12:13]
	v_fma_f64 v[26:27], -v[14:15], v[16:17], 1.0
	v_fmac_f64_e32 v[16:17], v[16:17], v[26:27]
	v_fma_f64 v[26:27], -v[14:15], v[16:17], 1.0
	v_fmac_f64_e32 v[16:17], v[16:17], v[26:27]
	v_mul_f64 v[26:27], v[18:19], v[16:17]
	v_fma_f64 v[14:15], -v[14:15], v[26:27], v[18:19]
	v_div_fmas_f64 v[14:15], v[14:15], v[16:17], v[26:27]
	v_div_fixup_f64 v[10:11], v[14:15], v[10:11], v[12:13]
	ds_write_b64 v1, v[10:11]
.LBB10_15:                              ;   in Loop: Header=BB10_9 Depth=2
	s_or_b64 exec, exec, s[34:35]
	v_cmp_gt_u32_e32 vcc, s39, v8
	s_and_b64 s[44:45], s[30:31], vcc
	s_waitcnt lgkmcnt(0)
	s_barrier
	s_and_saveexec_b64 s[34:35], s[44:45]
	s_cbranch_execz .LBB10_8
; %bb.16:                               ;   in Loop: Header=BB10_9 Depth=2
	v_add_co_u32_e32 v10, vcc, -8, v4
	v_mov_b32_e32 v12, s38
	s_nop 0
	v_addc_co_u32_e32 v11, vcc, -1, v5, vcc
	flat_load_dwordx2 v[10:11], v[10:11]
	ds_read_b64 v[12:13], v12
	ds_read_b64 v[14:15], v1
	s_waitcnt vmcnt(0) lgkmcnt(0)
	v_fma_f64 v[10:11], -v[10:11], v[12:13], v[14:15]
	ds_write_b64 v1, v[10:11]
	s_branch .LBB10_8
.LBB10_17:                              ;   in Loop: Header=BB10_5 Depth=1
	s_add_i32 s44, s36, 0xfffffe00
	s_cmp_lt_i32 s36, 1
	s_cselect_b64 s[28:29], -1, 0
	s_and_b64 vcc, exec, s[28:29]
	s_waitcnt lgkmcnt(0)
	s_barrier
	s_cbranch_vccnz .LBB10_41
; %bb.18:                               ;   in Loop: Header=BB10_5 Depth=1
	v_ashrrev_i32_e32 v7, 31, v23
	v_mad_i64_i32 v[4:5], s[30:31], v23, -8, s[2:3]
	v_mov_b32_e32 v8, s33
	v_sub_co_u32_e32 v6, vcc, s12, v23
	s_mov_b64 s[30:31], 0
	s_nop 0
	v_subb_co_u32_e32 v7, vcc, v8, v7, vcc
	v_mov_b32_e32 v25, v23
	v_mov_b32_e32 v26, v0
	s_mov_b32 s45, s44
                                        ; implicit-def: $sgpr34_sgpr35
	s_branch .LBB10_21
.LBB10_19:                              ;   in Loop: Header=BB10_21 Depth=2
	v_mad_u64_u32 v[10:11], s[38:39], s6, v27, 0
	v_mov_b32_e32 v12, v11
	v_mad_u64_u32 v[12:13], s[38:39], s7, v27, v[12:13]
	v_mov_b32_e32 v11, v12
	v_lshl_add_u64 v[10:11], v[10:11], 3, s[4:5]
	flat_load_dwordx2 v[12:13], v[10:11]
	s_add_i32 s46, s45, 0xfffffe00
	s_cmp_lt_i32 s45, 1
	s_cselect_b64 s[38:39], -1, 0
	s_andn2_b64 s[34:35], s[34:35], exec
	s_and_b64 s[38:39], s[38:39], exec
	v_add_u32_e32 v26, 0xfffffe00, v26
	v_lshl_add_u64 v[4:5], v[4:5], 0, s[22:23]
	v_lshl_add_u64 v[6:7], v[6:7], 0, s[24:25]
	v_add_u32_e32 v25, 0xfffffe00, v25
	s_or_b64 s[34:35], s[34:35], s[38:39]
	s_mov_b32 s45, s46
	s_waitcnt vmcnt(0) lgkmcnt(0)
	v_add_f64 v[8:9], v[12:13], -v[8:9]
	flat_store_dwordx2 v[10:11], v[8:9]
.LBB10_20:                              ;   in Loop: Header=BB10_21 Depth=2
	s_or_b64 exec, exec, s[36:37]
	s_and_b64 s[36:37], exec, s[34:35]
	s_or_b64 s[30:31], s[36:37], s[30:31]
	s_andn2_b64 exec, exec, s[30:31]
	s_cbranch_execz .LBB10_40
.LBB10_21:                              ;   Parent Loop BB10_5 Depth=1
                                        ; =>  This Loop Header: Depth=2
                                        ;       Child Loop BB10_24 Depth 3
	v_add_u32_e32 v27, s45, v0
	v_cmp_lt_i32_e32 vcc, -1, v27
	s_or_b64 s[34:35], s[34:35], exec
	s_and_saveexec_b64 s[36:37], vcc
	s_cbranch_execz .LBB10_20
; %bb.22:                               ;   in Loop: Header=BB10_21 Depth=2
	v_mad_u64_u32 v[8:9], s[38:39], v6, v25, 0
	v_mov_b32_e32 v10, v9
	v_mad_u64_u32 v[10:11], s[38:39], v7, v25, v[10:11]
	v_mov_b32_e32 v9, v10
	v_lshlrev_b64 v[8:9], 2, v[8:9]
	v_and_b32_e32 v8, -8, v8
	v_lshl_add_u64 v[10:11], v[4:5], 0, v[8:9]
	v_mov_b64_e32 v[8:9], 0
	s_movk_i32 s46, 0x3000
	s_movk_i32 s47, 0x200
	s_branch .LBB10_24
.LBB10_23:                              ;   in Loop: Header=BB10_24 Depth=3
	s_or_b64 exec, exec, s[38:39]
	s_waitcnt lgkmcnt(0)
	v_add_f64 v[8:9], v[8:9], v[12:13]
	v_add_f64 v[8:9], v[8:9], v[14:15]
	;; [unrolled: 1-line block ×3, first 2 shown]
	s_add_i32 s46, s46, 32
	s_add_i32 s47, s47, -4
	v_add_f64 v[8:9], v[8:9], v[18:19]
	s_cmp_eq_u32 s47, 0
	v_lshl_add_u64 v[10:11], v[10:11], 0, 32
	s_cbranch_scc1 .LBB10_19
.LBB10_24:                              ;   Parent Loop BB10_5 Depth=1
                                        ;     Parent Loop BB10_21 Depth=2
                                        ; =>    This Inner Loop Header: Depth=3
	v_add_u32_e32 v18, s47, v26
	v_cmp_ne_u32_e32 vcc, s40, v18
	s_or_b64 s[38:39], s[26:27], vcc
                                        ; implicit-def: $vgpr12_vgpr13
	s_and_saveexec_b64 s[48:49], s[38:39]
	s_xor_b64 s[38:39], exec, s[48:49]
	s_cbranch_execz .LBB10_26
; %bb.25:                               ;   in Loop: Header=BB10_24 Depth=3
	flat_load_dwordx2 v[12:13], v[10:11]
	v_mov_b32_e32 v14, s46
	ds_read_b64 v[14:15], v14
	s_waitcnt vmcnt(0) lgkmcnt(0)
	v_mul_f64 v[12:13], v[12:13], v[14:15]
.LBB10_26:                              ;   in Loop: Header=BB10_24 Depth=3
	s_andn2_saveexec_b64 s[38:39], s[38:39]
; %bb.27:                               ;   in Loop: Header=BB10_24 Depth=3
	v_mov_b32_e32 v12, s46
	ds_read_b64 v[12:13], v12
; %bb.28:                               ;   in Loop: Header=BB10_24 Depth=3
	s_or_b64 exec, exec, s[38:39]
	v_cmp_ne_u32_e32 vcc, s41, v18
	s_or_b64 s[38:39], s[26:27], vcc
                                        ; implicit-def: $vgpr14_vgpr15
	s_and_saveexec_b64 s[48:49], s[38:39]
	s_xor_b64 s[38:39], exec, s[48:49]
	s_cbranch_execz .LBB10_30
; %bb.29:                               ;   in Loop: Header=BB10_24 Depth=3
	flat_load_dwordx2 v[14:15], v[10:11] offset:8
	v_mov_b32_e32 v16, s46
	ds_read_b64 v[16:17], v16 offset:8
	s_waitcnt vmcnt(0) lgkmcnt(0)
	v_mul_f64 v[14:15], v[14:15], v[16:17]
.LBB10_30:                              ;   in Loop: Header=BB10_24 Depth=3
	s_andn2_saveexec_b64 s[38:39], s[38:39]
; %bb.31:                               ;   in Loop: Header=BB10_24 Depth=3
	v_mov_b32_e32 v14, s46
	ds_read_b64 v[14:15], v14 offset:8
; %bb.32:                               ;   in Loop: Header=BB10_24 Depth=3
	s_or_b64 exec, exec, s[38:39]
	v_cmp_ne_u32_e32 vcc, s42, v18
	s_or_b64 s[38:39], s[26:27], vcc
                                        ; implicit-def: $vgpr16_vgpr17
	s_and_saveexec_b64 s[48:49], s[38:39]
	s_xor_b64 s[38:39], exec, s[48:49]
	s_cbranch_execz .LBB10_34
; %bb.33:                               ;   in Loop: Header=BB10_24 Depth=3
	flat_load_dwordx2 v[16:17], v[10:11] offset:16
	v_mov_b32_e32 v19, s46
	ds_read_b64 v[28:29], v19 offset:16
	s_waitcnt vmcnt(0) lgkmcnt(0)
	v_mul_f64 v[16:17], v[16:17], v[28:29]
.LBB10_34:                              ;   in Loop: Header=BB10_24 Depth=3
	s_andn2_saveexec_b64 s[38:39], s[38:39]
; %bb.35:                               ;   in Loop: Header=BB10_24 Depth=3
	v_mov_b32_e32 v16, s46
	ds_read_b64 v[16:17], v16 offset:16
; %bb.36:                               ;   in Loop: Header=BB10_24 Depth=3
	s_or_b64 exec, exec, s[38:39]
	v_cmp_ne_u32_e32 vcc, s43, v18
	s_or_b64 s[38:39], s[26:27], vcc
                                        ; implicit-def: $vgpr18_vgpr19
	s_and_saveexec_b64 s[48:49], s[38:39]
	s_xor_b64 s[38:39], exec, s[48:49]
	s_cbranch_execz .LBB10_38
; %bb.37:                               ;   in Loop: Header=BB10_24 Depth=3
	flat_load_dwordx2 v[18:19], v[10:11] offset:24
	v_mov_b32_e32 v28, s46
	ds_read_b64 v[28:29], v28 offset:24
	s_waitcnt vmcnt(0) lgkmcnt(0)
	v_mul_f64 v[18:19], v[18:19], v[28:29]
.LBB10_38:                              ;   in Loop: Header=BB10_24 Depth=3
	s_andn2_saveexec_b64 s[38:39], s[38:39]
	s_cbranch_execz .LBB10_23
; %bb.39:                               ;   in Loop: Header=BB10_24 Depth=3
	v_mov_b32_e32 v18, s46
	ds_read_b64 v[18:19], v18 offset:24
	s_branch .LBB10_23
.LBB10_40:                              ;   in Loop: Header=BB10_5 Depth=1
	s_or_b64 exec, exec, s[30:31]
.LBB10_41:                              ;   in Loop: Header=BB10_5 Depth=1
	s_and_saveexec_b64 s[30:31], s[0:1]
	s_cbranch_execz .LBB10_4
; %bb.42:                               ;   in Loop: Header=BB10_5 Depth=1
	ds_read_b64 v[4:5], v1
	v_mad_u64_u32 v[6:7], s[0:1], s6, v24, 0
	v_mov_b32_e32 v8, v7
	v_mad_u64_u32 v[8:9], s[0:1], s7, v24, v[8:9]
	v_mov_b32_e32 v7, v8
	v_lshl_add_u64 v[6:7], v[6:7], 3, s[4:5]
	s_waitcnt lgkmcnt(0)
	flat_store_dwordx2 v[6:7], v[4:5]
	s_branch .LBB10_4
.LBB10_43:
	s_mov_b64 s[0:1], 0
.LBB10_44:
	s_andn2_b64 vcc, exec, s[0:1]
	s_cbranch_vccnz .LBB10_92
; %bb.45:
	s_andn2_b64 vcc, exec, s[14:15]
	s_cbranch_vccnz .LBB10_92
; %bb.46:
	v_mov_b32_e32 v1, 0x1000
	v_mov_b32_e32 v3, 0
	v_lshl_or_b32 v16, v0, 3, v1
	v_mov_b32_e32 v1, v3
	v_mad_u64_u32 v[4:5], s[0:1], v0, v0, v[0:1]
	v_lshlrev_b32_e32 v2, 10, v0
	s_mov_b64 s[0:1], 0x40200
	v_lshl_add_u64 v[6:7], v[2:3], 0, s[0:1]
	v_or_b32_e32 v2, 0x200, v0
	s_mov_b32 s12, 0
	v_add_u32_e32 v1, 0x201, v0
	s_xor_b64 s[22:23], s[8:9], -1
	s_mov_b64 s[24:25], 0x200
	s_mov_b64 s[26:27], 0x80000
	v_mov_b64_e32 v[8:9], v[2:3]
	s_mov_b64 s[28:29], s[10:11]
	s_branch .LBB10_48
.LBB10_47:                              ;   in Loop: Header=BB10_48 Depth=1
	s_or_b64 exec, exec, s[30:31]
	s_add_u32 s28, s28, 0x1000
	v_lshl_add_u64 v[10:11], v[6:7], 0, s[26:27]
	s_addc_u32 s29, s29, 0
	v_lshl_add_u64 v[4:5], v[4:5], 0, v[6:7]
	v_lshl_add_u64 v[8:9], v[8:9], 0, s[24:25]
	v_add_u32_e32 v1, 0x200, v1
	s_and_b64 vcc, exec, s[2:3]
	v_mov_b64_e32 v[6:7], v[10:11]
	s_mov_b32 s12, s33
	s_waitcnt lgkmcnt(0)
	s_barrier
	s_cbranch_vccnz .LBB10_92
.LBB10_48:                              ; =>This Loop Header: Depth=1
                                        ;     Child Loop BB10_52 Depth 2
                                        ;     Child Loop BB10_66 Depth 2
                                        ;       Child Loop BB10_69 Depth 3
	v_add_u32_e32 v17, s12, v0
	v_cmp_le_i32_e32 vcc, s13, v17
	v_cmp_gt_i32_e64 s[0:1], s13, v17
	s_and_saveexec_b64 s[2:3], s[0:1]
	s_cbranch_execz .LBB10_50
; %bb.49:                               ;   in Loop: Header=BB10_48 Depth=1
	v_mad_u64_u32 v[10:11], s[30:31], s6, v17, 0
	v_mov_b32_e32 v2, v11
	v_mad_u64_u32 v[12:13], s[30:31], s7, v17, v[2:3]
	v_mov_b32_e32 v11, v12
	v_lshl_add_u64 v[10:11], v[10:11], 3, s[4:5]
	flat_load_dwordx2 v[10:11], v[10:11]
	s_waitcnt vmcnt(0) lgkmcnt(0)
	ds_write_b64 v16, v[10:11]
.LBB10_50:                              ;   in Loop: Header=BB10_48 Depth=1
	s_or_b64 exec, exec, s[2:3]
	v_or_b32_e32 v2, s12, v0
	v_add_u32_e32 v12, 1, v2
	v_mad_u64_u32 v[12:13], s[30:31], v12, v2, 0
	v_lshlrev_b64 v[12:13], 2, v[12:13]
	v_lshlrev_b64 v[10:11], 2, v[4:5]
	v_and_b32_e32 v12, -8, v12
	v_and_b32_e32 v10, -8, v10
	v_lshl_add_u64 v[12:13], s[10:11], 0, v[12:13]
	v_lshl_add_u64 v[10:11], s[28:29], 0, v[10:11]
	v_cmp_le_i32_e64 s[2:3], s13, v2
	v_lshl_add_u64 v[12:13], v[2:3], 3, v[12:13]
	s_mov_b32 s36, 0
	s_movk_i32 s33, 0x1000
	s_xor_b64 s[30:31], vcc, -1
	s_waitcnt lgkmcnt(0)
	s_barrier
	s_branch .LBB10_52
.LBB10_51:                              ;   in Loop: Header=BB10_52 Depth=2
	s_or_b64 exec, exec, s[34:35]
	s_add_i32 s33, s33, 16
	s_add_i32 s36, s37, 1
	s_cmpk_eq_i32 s36, 0x200
	v_lshl_add_u64 v[10:11], v[10:11], 0, 16
	s_cbranch_scc1 .LBB10_62
.LBB10_52:                              ;   Parent Loop BB10_48 Depth=1
                                        ; =>  This Inner Loop Header: Depth=2
	v_cmp_ne_u32_e32 vcc, s36, v0
	s_or_b64 s[34:35], s[8:9], vcc
	s_nor_b64 s[38:39], s[34:35], s[2:3]
	s_and_saveexec_b64 s[34:35], s[38:39]
	s_cbranch_execz .LBB10_54
; %bb.53:                               ;   in Loop: Header=BB10_52 Depth=2
	flat_load_dwordx2 v[14:15], v[12:13]
	ds_read_b64 v[18:19], v16
	s_waitcnt vmcnt(0) lgkmcnt(0)
	v_div_scale_f64 v[20:21], s[38:39], v[14:15], v[14:15], v[18:19]
	v_rcp_f64_e32 v[22:23], v[20:21]
	v_div_scale_f64 v[24:25], vcc, v[18:19], v[14:15], v[18:19]
	v_fma_f64 v[26:27], -v[20:21], v[22:23], 1.0
	v_fmac_f64_e32 v[22:23], v[22:23], v[26:27]
	v_fma_f64 v[26:27], -v[20:21], v[22:23], 1.0
	v_fmac_f64_e32 v[22:23], v[22:23], v[26:27]
	v_mul_f64 v[26:27], v[24:25], v[22:23]
	v_fma_f64 v[20:21], -v[20:21], v[26:27], v[24:25]
	v_div_fmas_f64 v[20:21], v[20:21], v[22:23], v[26:27]
	v_div_fixup_f64 v[14:15], v[20:21], v[14:15], v[18:19]
	ds_write_b64 v16, v[14:15]
.LBB10_54:                              ;   in Loop: Header=BB10_52 Depth=2
	s_or_b64 exec, exec, s[34:35]
	v_cmp_lt_u32_e32 vcc, s36, v0
	s_waitcnt lgkmcnt(0)
	s_barrier
	s_and_saveexec_b64 s[34:35], vcc
	s_cbranch_execz .LBB10_57
; %bb.55:                               ;   in Loop: Header=BB10_52 Depth=2
	s_add_i32 s37, s12, s36
	s_cmp_lt_i32 s37, s13
	s_cselect_b64 s[38:39], -1, 0
	s_and_b64 s[38:39], s[30:31], s[38:39]
	s_and_b64 exec, exec, s[38:39]
	s_cbranch_execz .LBB10_57
; %bb.56:                               ;   in Loop: Header=BB10_52 Depth=2
	flat_load_dwordx2 v[14:15], v[10:11]
	v_mov_b32_e32 v2, s33
	ds_read_b64 v[18:19], v2
	ds_read_b64 v[20:21], v16
	s_waitcnt vmcnt(0) lgkmcnt(0)
	v_fma_f64 v[14:15], -v[14:15], v[18:19], v[20:21]
	ds_write_b64 v16, v[14:15]
.LBB10_57:                              ;   in Loop: Header=BB10_52 Depth=2
	s_or_b64 exec, exec, s[34:35]
	s_add_i32 s37, s36, 1
	v_cmp_ne_u32_e32 vcc, s37, v0
	s_or_b64 s[34:35], s[8:9], vcc
	s_nor_b64 s[38:39], s[34:35], s[2:3]
	s_and_saveexec_b64 s[34:35], s[38:39]
	s_cbranch_execz .LBB10_59
; %bb.58:                               ;   in Loop: Header=BB10_52 Depth=2
	flat_load_dwordx2 v[14:15], v[12:13]
	ds_read_b64 v[18:19], v16
	s_waitcnt vmcnt(0) lgkmcnt(0)
	v_div_scale_f64 v[20:21], s[38:39], v[14:15], v[14:15], v[18:19]
	v_rcp_f64_e32 v[22:23], v[20:21]
	v_div_scale_f64 v[24:25], vcc, v[18:19], v[14:15], v[18:19]
	v_fma_f64 v[26:27], -v[20:21], v[22:23], 1.0
	v_fmac_f64_e32 v[22:23], v[22:23], v[26:27]
	v_fma_f64 v[26:27], -v[20:21], v[22:23], 1.0
	v_fmac_f64_e32 v[22:23], v[22:23], v[26:27]
	v_mul_f64 v[26:27], v[24:25], v[22:23]
	v_fma_f64 v[20:21], -v[20:21], v[26:27], v[24:25]
	v_div_fmas_f64 v[20:21], v[20:21], v[22:23], v[26:27]
	v_div_fixup_f64 v[14:15], v[20:21], v[14:15], v[18:19]
	ds_write_b64 v16, v[14:15]
.LBB10_59:                              ;   in Loop: Header=BB10_52 Depth=2
	s_or_b64 exec, exec, s[34:35]
	v_cmp_lt_u32_e32 vcc, s37, v0
	s_waitcnt lgkmcnt(0)
	s_barrier
	s_and_saveexec_b64 s[34:35], vcc
	s_cbranch_execz .LBB10_51
; %bb.60:                               ;   in Loop: Header=BB10_52 Depth=2
	s_add_i32 s36, s12, s36
	s_add_i32 s36, s36, 1
	s_cmp_lt_i32 s36, s13
	s_cselect_b64 s[38:39], -1, 0
	s_and_b64 s[38:39], s[30:31], s[38:39]
	s_and_b64 exec, exec, s[38:39]
	s_cbranch_execz .LBB10_51
; %bb.61:                               ;   in Loop: Header=BB10_52 Depth=2
	flat_load_dwordx2 v[14:15], v[10:11] offset:8
	v_mov_b32_e32 v2, s33
	ds_read_b64 v[18:19], v2 offset:8
	ds_read_b64 v[20:21], v16
	s_waitcnt vmcnt(0) lgkmcnt(0)
	v_fma_f64 v[14:15], -v[14:15], v[18:19], v[20:21]
	ds_write_b64 v16, v[14:15]
	s_branch .LBB10_51
.LBB10_62:                              ;   in Loop: Header=BB10_48 Depth=1
	s_add_i32 s33, s12, 0x200
	s_cmp_ge_i32 s33, s13
	s_cselect_b64 s[2:3], -1, 0
	s_and_b64 vcc, exec, s[2:3]
	s_waitcnt lgkmcnt(0)
	s_barrier
	s_cbranch_vccnz .LBB10_90
; %bb.63:                               ;   in Loop: Header=BB10_48 Depth=1
	s_mov_b64 s[30:31], 0
	v_mov_b32_e32 v2, v1
	v_mov_b64_e32 v[10:11], v[8:9]
	v_mov_b32_e32 v18, v0
	s_mov_b32 s40, s33
                                        ; implicit-def: $sgpr34_sgpr35
	s_branch .LBB10_66
.LBB10_64:                              ;   in Loop: Header=BB10_66 Depth=2
	v_mad_u64_u32 v[14:15], s[38:39], s6, v19, 0
	v_mov_b32_e32 v20, v15
	v_mad_u64_u32 v[20:21], s[38:39], s7, v19, v[20:21]
	v_mov_b32_e32 v15, v20
	v_lshl_add_u64 v[14:15], v[14:15], 3, s[4:5]
	flat_load_dwordx2 v[20:21], v[14:15]
	s_addk_i32 s40, 0x200
	s_cmp_ge_i32 s40, s13
	s_cselect_b64 s[38:39], -1, 0
	s_andn2_b64 s[34:35], s[34:35], exec
	s_and_b64 s[38:39], s[38:39], exec
	v_lshl_add_u64 v[10:11], v[10:11], 0, s[24:25]
	v_add_u32_e32 v2, 0x200, v2
	s_or_b64 s[34:35], s[34:35], s[38:39]
	s_waitcnt vmcnt(0) lgkmcnt(0)
	v_add_f64 v[12:13], v[20:21], -v[12:13]
	flat_store_dwordx2 v[14:15], v[12:13]
.LBB10_65:                              ;   in Loop: Header=BB10_66 Depth=2
	s_or_b64 exec, exec, s[36:37]
	s_and_b64 s[36:37], exec, s[34:35]
	s_or_b64 s[30:31], s[36:37], s[30:31]
	s_andn2_b64 exec, exec, s[30:31]
	s_cbranch_execz .LBB10_89
.LBB10_66:                              ;   Parent Loop BB10_48 Depth=1
                                        ; =>  This Loop Header: Depth=2
                                        ;       Child Loop BB10_69 Depth 3
	v_add_u32_e32 v19, s40, v0
	v_cmp_gt_i32_e32 vcc, s13, v19
	s_or_b64 s[34:35], s[34:35], exec
	s_and_saveexec_b64 s[36:37], vcc
	s_cbranch_execz .LBB10_65
; %bb.67:                               ;   in Loop: Header=BB10_66 Depth=2
	v_mad_u64_u32 v[12:13], s[38:39], v10, v2, 0
	v_mov_b32_e32 v14, v13
	v_mad_u64_u32 v[14:15], s[38:39], v11, v2, v[14:15]
	v_mov_b32_e32 v13, v14
	v_lshlrev_b64 v[12:13], 2, v[12:13]
	v_and_b32_e32 v12, -8, v12
	v_lshl_add_u64 v[14:15], s[28:29], 0, v[12:13]
	v_add_u32_e32 v20, 0x1fd, v18
	v_add_u32_e32 v21, 0x1fe, v18
	;; [unrolled: 1-line block ×4, first 2 shown]
	v_mov_b64_e32 v[12:13], 0
	s_mov_b32 s41, 0
	s_movk_i32 s42, 0x1000
	s_branch .LBB10_69
.LBB10_68:                              ;   in Loop: Header=BB10_69 Depth=3
	s_or_b64 exec, exec, s[38:39]
	s_add_i32 s41, s41, 4
	s_add_i32 s42, s42, 32
	s_cmpk_eq_i32 s41, 0x200
	v_lshl_add_u64 v[14:15], v[14:15], 0, 32
	s_cbranch_scc1 .LBB10_64
.LBB10_69:                              ;   Parent Loop BB10_48 Depth=1
                                        ;     Parent Loop BB10_66 Depth=2
                                        ; =>    This Inner Loop Header: Depth=3
	v_cmp_ne_u32_e32 vcc, s41, v18
	s_add_i32 s43, s12, s41
	s_or_b64 s[38:39], s[22:23], vcc
	s_and_saveexec_b64 s[44:45], s[38:39]
	s_xor_b64 s[38:39], exec, s[44:45]
	s_cbranch_execz .LBB10_72
; %bb.70:                               ;   in Loop: Header=BB10_69 Depth=3
	s_cmp_ge_i32 s43, s13
	s_cbranch_scc1 .LBB10_72
; %bb.71:                               ;   in Loop: Header=BB10_69 Depth=3
	flat_load_dwordx2 v[24:25], v[14:15]
	v_mov_b32_e32 v23, s42
	ds_read_b64 v[26:27], v23
	s_waitcnt vmcnt(0) lgkmcnt(0)
	v_fmac_f64_e32 v[12:13], v[24:25], v[26:27]
.LBB10_72:                              ;   in Loop: Header=BB10_69 Depth=3
	s_andn2_saveexec_b64 s[38:39], s[38:39]
	s_cbranch_execz .LBB10_74
; %bb.73:                               ;   in Loop: Header=BB10_69 Depth=3
	v_mov_b32_e32 v23, s42
	ds_read_b64 v[24:25], v23
	s_waitcnt lgkmcnt(0)
	v_add_f64 v[12:13], v[12:13], v[24:25]
.LBB10_74:                              ;   in Loop: Header=BB10_69 Depth=3
	s_or_b64 exec, exec, s[38:39]
	v_cmp_ne_u32_e32 vcc, s41, v22
	s_or_b64 s[38:39], s[22:23], vcc
	s_and_saveexec_b64 s[44:45], s[38:39]
	s_xor_b64 s[38:39], exec, s[44:45]
	s_cbranch_execz .LBB10_77
; %bb.75:                               ;   in Loop: Header=BB10_69 Depth=3
	s_add_i32 s44, s43, 1
	s_cmp_ge_i32 s44, s13
	s_cbranch_scc1 .LBB10_77
; %bb.76:                               ;   in Loop: Header=BB10_69 Depth=3
	flat_load_dwordx2 v[24:25], v[14:15] offset:8
	v_mov_b32_e32 v23, s42
	ds_read_b64 v[26:27], v23 offset:8
	s_waitcnt vmcnt(0) lgkmcnt(0)
	v_fmac_f64_e32 v[12:13], v[24:25], v[26:27]
.LBB10_77:                              ;   in Loop: Header=BB10_69 Depth=3
	s_andn2_saveexec_b64 s[38:39], s[38:39]
	s_cbranch_execz .LBB10_79
; %bb.78:                               ;   in Loop: Header=BB10_69 Depth=3
	v_mov_b32_e32 v23, s42
	ds_read_b64 v[24:25], v23 offset:8
	s_waitcnt lgkmcnt(0)
	v_add_f64 v[12:13], v[12:13], v[24:25]
.LBB10_79:                              ;   in Loop: Header=BB10_69 Depth=3
	s_or_b64 exec, exec, s[38:39]
	v_cmp_ne_u32_e32 vcc, s41, v21
	s_or_b64 s[38:39], s[22:23], vcc
	s_and_saveexec_b64 s[44:45], s[38:39]
	s_xor_b64 s[38:39], exec, s[44:45]
	s_cbranch_execz .LBB10_82
; %bb.80:                               ;   in Loop: Header=BB10_69 Depth=3
	s_add_i32 s44, s43, 2
	s_cmp_ge_i32 s44, s13
	s_cbranch_scc1 .LBB10_82
; %bb.81:                               ;   in Loop: Header=BB10_69 Depth=3
	flat_load_dwordx2 v[24:25], v[14:15] offset:16
	v_mov_b32_e32 v23, s42
	ds_read_b64 v[26:27], v23 offset:16
	s_waitcnt vmcnt(0) lgkmcnt(0)
	v_fmac_f64_e32 v[12:13], v[24:25], v[26:27]
.LBB10_82:                              ;   in Loop: Header=BB10_69 Depth=3
	s_andn2_saveexec_b64 s[38:39], s[38:39]
	s_cbranch_execz .LBB10_84
; %bb.83:                               ;   in Loop: Header=BB10_69 Depth=3
	v_mov_b32_e32 v23, s42
	ds_read_b64 v[24:25], v23 offset:16
	s_waitcnt lgkmcnt(0)
	v_add_f64 v[12:13], v[12:13], v[24:25]
.LBB10_84:                              ;   in Loop: Header=BB10_69 Depth=3
	s_or_b64 exec, exec, s[38:39]
	v_cmp_ne_u32_e32 vcc, s41, v20
	s_or_b64 s[38:39], s[22:23], vcc
	s_and_saveexec_b64 s[44:45], s[38:39]
	s_xor_b64 s[38:39], exec, s[44:45]
	s_cbranch_execz .LBB10_87
; %bb.85:                               ;   in Loop: Header=BB10_69 Depth=3
	s_add_i32 s43, s43, 3
	s_cmp_ge_i32 s43, s13
	s_cbranch_scc1 .LBB10_87
; %bb.86:                               ;   in Loop: Header=BB10_69 Depth=3
	flat_load_dwordx2 v[24:25], v[14:15] offset:24
	v_mov_b32_e32 v23, s42
	ds_read_b64 v[26:27], v23 offset:24
	s_waitcnt vmcnt(0) lgkmcnt(0)
	v_fmac_f64_e32 v[12:13], v[24:25], v[26:27]
.LBB10_87:                              ;   in Loop: Header=BB10_69 Depth=3
	s_andn2_saveexec_b64 s[38:39], s[38:39]
	s_cbranch_execz .LBB10_68
; %bb.88:                               ;   in Loop: Header=BB10_69 Depth=3
	v_mov_b32_e32 v23, s42
	ds_read_b64 v[24:25], v23 offset:24
	s_waitcnt lgkmcnt(0)
	v_add_f64 v[12:13], v[12:13], v[24:25]
	s_branch .LBB10_68
.LBB10_89:                              ;   in Loop: Header=BB10_48 Depth=1
	s_or_b64 exec, exec, s[30:31]
.LBB10_90:                              ;   in Loop: Header=BB10_48 Depth=1
	s_and_saveexec_b64 s[30:31], s[0:1]
	s_cbranch_execz .LBB10_47
; %bb.91:                               ;   in Loop: Header=BB10_48 Depth=1
	ds_read_b64 v[10:11], v16
	v_mad_u64_u32 v[12:13], s[0:1], s6, v17, 0
	v_mov_b32_e32 v2, v13
	v_mad_u64_u32 v[14:15], s[0:1], s7, v17, v[2:3]
	v_mov_b32_e32 v13, v14
	v_lshl_add_u64 v[12:13], v[12:13], 3, s[4:5]
	s_waitcnt lgkmcnt(0)
	flat_store_dwordx2 v[12:13], v[10:11]
	s_branch .LBB10_47
.LBB10_92:
	s_mov_b64 s[0:1], 0
.LBB10_93:
	s_andn2_b64 vcc, exec, s[0:1]
	s_cbranch_vccnz .LBB10_180
; %bb.94:
	s_mov_b64 s[0:1], -1
	s_and_b64 vcc, exec, s[20:21]
	s_cbranch_vccz .LBB10_134
; %bb.95:
	s_andn2_b64 vcc, exec, s[14:15]
	s_cbranch_vccnz .LBB10_133
; %bb.96:
	s_lshl_b32 s20, s13, 1
	s_or_b32 s12, s20, 1
	s_ashr_i32 s21, s20, 31
	s_add_u32 s16, s16, s18
	s_addc_u32 s17, s17, s19
	s_lshl_b64 s[0:1], s[20:21], 9
	s_add_u32 s40, s0, 0xfffbfe00
	s_addc_u32 s41, s1, -1
	s_lshl_b64 s[2:3], s[20:21], 1
	s_add_u32 s18, s2, -6
	s_addc_u32 s19, s3, -1
	v_mov_b32_e32 v1, 0
	s_add_u32 s38, s0, 0xfffc0200
	v_lshlrev_b32_e32 v2, 3, v0
	v_mov_b32_e32 v3, v1
	s_addc_u32 s39, s1, -1
	v_lshl_add_u64 v[4:5], s[16:17], 0, v[2:3]
	s_add_u32 s22, s2, -2
	v_lshl_add_u64 v[6:7], v[4:5], 0, -8
	s_addc_u32 s23, s3, -1
	v_or_b32_e32 v8, 0x200, v0
	s_mov_b64 s[24:25], -1
	s_mov_b64 s[26:27], 0
	s_mov_b64 s[28:29], 0x200
	;; [unrolled: 1-line block ×6, first 2 shown]
	s_branch .LBB10_98
.LBB10_97:                              ;   in Loop: Header=BB10_98 Depth=1
	s_or_b64 exec, exec, s[42:43]
	s_add_u32 s0, s40, 0xfff80000
	s_addc_u32 s1, s41, -1
	s_add_u32 s20, s20, s40
	s_addc_u32 s21, s21, s41
	s_add_u32 s18, s18, 0xfffff800
	s_addc_u32 s19, s19, -1
	s_add_u32 s40, s38, 0xfff80000
	s_addc_u32 s41, s39, -1
	s_add_u32 s26, s26, s38
	s_addc_u32 s27, s27, s39
	s_add_u32 s22, s22, 0xfffff800
	s_addc_u32 s23, s23, -1
	s_add_u32 s24, s24, 0xfffffe00
	s_addc_u32 s25, s25, -1
	s_add_u32 s36, s36, 0xfffffe00
	v_add_u32_e32 v8, 0x200, v8
	s_addc_u32 s37, s37, -1
	s_and_b64 vcc, exec, s[44:45]
	s_mov_b64 s[38:39], s[40:41]
	s_mov_b64 s[40:41], s[0:1]
	;; [unrolled: 1-line block ×3, first 2 shown]
	s_waitcnt lgkmcnt(0)
	s_barrier
	s_cbranch_vccnz .LBB10_133
.LBB10_98:                              ; =>This Loop Header: Depth=1
                                        ;     Child Loop BB10_102 Depth 2
                                        ;     Child Loop BB10_116 Depth 2
                                        ;       Child Loop BB10_118 Depth 3
	v_add_u32_e32 v3, s42, v0
	v_cmp_le_i32_e32 vcc, s13, v3
	v_cmp_gt_i32_e64 s[0:1], s13, v3
	s_and_saveexec_b64 s[2:3], s[0:1]
	s_cbranch_execz .LBB10_100
; %bb.99:                               ;   in Loop: Header=BB10_98 Depth=1
	v_mad_u64_u32 v[10:11], s[44:45], s6, v3, 0
	v_mov_b32_e32 v12, v11
	v_mad_u64_u32 v[12:13], s[44:45], s7, v3, v[12:13]
	v_mov_b32_e32 v11, v12
	v_lshl_add_u64 v[10:11], v[10:11], 3, s[4:5]
	flat_load_dwordx2 v[10:11], v[10:11]
	s_waitcnt vmcnt(0) lgkmcnt(0)
	ds_write_b64 v2, v[10:11]
.LBB10_100:                             ;   in Loop: Header=BB10_98 Depth=1
	s_or_b64 exec, exec, s[2:3]
	v_or_b32_e32 v9, s42, v0
	v_sub_u32_e32 v10, s12, v9
	v_ashrrev_i32_e32 v13, 31, v10
	v_mad_u64_u32 v[10:11], s[44:45], v10, v9, 0
	v_mov_b32_e32 v12, v11
	v_mad_u64_u32 v[12:13], s[44:45], v13, v9, v[12:13]
	v_mov_b32_e32 v11, v12
	v_lshlrev_b64 v[10:11], 2, v[10:11]
	v_and_b32_e32 v10, -8, v10
	v_cmp_le_i32_e64 s[2:3], s13, v9
	v_lshl_add_u64 v[10:11], s[10:11], 0, v[10:11]
	s_mov_b32 s33, 0
	s_mov_b64 s[54:55], 0
	s_xor_b64 s[44:45], vcc, -1
	s_mov_b64 s[46:47], s[26:27]
	s_mov_b64 s[50:51], s[22:23]
	v_mov_b64_e32 v[12:13], v[4:5]
	s_mov_b64 s[48:49], s[20:21]
	s_mov_b64 s[52:53], s[18:19]
	v_mov_b64_e32 v[14:15], v[6:7]
	s_waitcnt lgkmcnt(0)
	s_barrier
	s_branch .LBB10_102
.LBB10_101:                             ;   in Loop: Header=BB10_102 Depth=2
	s_or_b64 exec, exec, s[56:57]
	s_add_i32 s33, s33, 16
	s_add_u32 s56, s52, -8
	s_addc_u32 s57, s53, -1
	s_add_u32 s48, s48, s52
	s_addc_u32 s49, s49, s53
	s_add_u32 s52, s50, -8
	s_addc_u32 s53, s51, -1
	s_add_u32 s46, s46, s50
	s_addc_u32 s47, s47, s51
	s_add_u32 s54, s58, 1
	s_addc_u32 s55, s55, 0
	v_lshl_add_u64 v[14:15], v[14:15], 0, -16
	v_lshl_add_u64 v[12:13], v[12:13], 0, -16
	s_cmpk_eq_i32 s54, 0x200
	s_mov_b64 s[50:51], s[52:53]
	s_mov_b64 s[52:53], s[56:57]
	s_cbranch_scc1 .LBB10_112
.LBB10_102:                             ;   Parent Loop BB10_98 Depth=1
                                        ; =>  This Inner Loop Header: Depth=2
	v_cmp_ne_u32_e32 vcc, s54, v0
	s_or_b64 s[56:57], s[8:9], vcc
	s_nor_b64 s[58:59], s[56:57], s[2:3]
	s_and_saveexec_b64 s[56:57], s[58:59]
	s_cbranch_execz .LBB10_104
; %bb.103:                              ;   in Loop: Header=BB10_102 Depth=2
	flat_load_dwordx2 v[16:17], v[10:11]
	ds_read_b64 v[18:19], v2
	s_waitcnt vmcnt(0) lgkmcnt(0)
	v_div_scale_f64 v[20:21], s[58:59], v[16:17], v[16:17], v[18:19]
	v_rcp_f64_e32 v[22:23], v[20:21]
	v_div_scale_f64 v[24:25], vcc, v[18:19], v[16:17], v[18:19]
	v_fma_f64 v[26:27], -v[20:21], v[22:23], 1.0
	v_fmac_f64_e32 v[22:23], v[22:23], v[26:27]
	v_fma_f64 v[26:27], -v[20:21], v[22:23], 1.0
	v_fmac_f64_e32 v[22:23], v[22:23], v[26:27]
	v_mul_f64 v[26:27], v[24:25], v[22:23]
	v_fma_f64 v[20:21], -v[20:21], v[26:27], v[24:25]
	v_div_fmas_f64 v[20:21], v[20:21], v[22:23], v[26:27]
	v_div_fixup_f64 v[16:17], v[20:21], v[16:17], v[18:19]
	ds_write_b64 v2, v[16:17]
.LBB10_104:                             ;   in Loop: Header=BB10_102 Depth=2
	s_or_b64 exec, exec, s[56:57]
	v_cmp_lt_u32_e32 vcc, s54, v0
	s_waitcnt lgkmcnt(0)
	s_barrier
	s_and_saveexec_b64 s[56:57], vcc
	s_cbranch_execz .LBB10_107
; %bb.105:                              ;   in Loop: Header=BB10_102 Depth=2
	s_add_i32 s58, s42, s54
	s_cmp_lt_i32 s58, s13
	s_cselect_b64 s[58:59], -1, 0
	s_and_b64 s[58:59], s[44:45], s[58:59]
	s_and_b64 exec, exec, s[58:59]
	s_cbranch_execz .LBB10_107
; %bb.106:                              ;   in Loop: Header=BB10_102 Depth=2
	s_lshl_b64 s[58:59], s[46:47], 2
	s_and_b32 s58, s58, -8
	v_lshl_add_u64 v[16:17], v[12:13], 0, s[58:59]
	flat_load_dwordx2 v[16:17], v[16:17]
	v_mov_b32_e32 v9, s33
	ds_read_b64 v[18:19], v9
	ds_read_b64 v[20:21], v2
	s_waitcnt vmcnt(0) lgkmcnt(0)
	v_fma_f64 v[16:17], -v[16:17], v[18:19], v[20:21]
	ds_write_b64 v2, v[16:17]
.LBB10_107:                             ;   in Loop: Header=BB10_102 Depth=2
	s_or_b64 exec, exec, s[56:57]
	s_add_u32 s58, s54, 1
	v_cmp_ne_u32_e32 vcc, s58, v0
	s_addc_u32 s55, s55, 0
	s_or_b64 s[56:57], s[8:9], vcc
	s_nor_b64 s[60:61], s[56:57], s[2:3]
	s_and_saveexec_b64 s[56:57], s[60:61]
	s_cbranch_execz .LBB10_109
; %bb.108:                              ;   in Loop: Header=BB10_102 Depth=2
	flat_load_dwordx2 v[16:17], v[10:11]
	ds_read_b64 v[18:19], v2
	s_waitcnt vmcnt(0) lgkmcnt(0)
	v_div_scale_f64 v[20:21], s[60:61], v[16:17], v[16:17], v[18:19]
	v_rcp_f64_e32 v[22:23], v[20:21]
	v_div_scale_f64 v[24:25], vcc, v[18:19], v[16:17], v[18:19]
	v_fma_f64 v[26:27], -v[20:21], v[22:23], 1.0
	v_fmac_f64_e32 v[22:23], v[22:23], v[26:27]
	v_fma_f64 v[26:27], -v[20:21], v[22:23], 1.0
	v_fmac_f64_e32 v[22:23], v[22:23], v[26:27]
	v_mul_f64 v[26:27], v[24:25], v[22:23]
	v_fma_f64 v[20:21], -v[20:21], v[26:27], v[24:25]
	v_div_fmas_f64 v[20:21], v[20:21], v[22:23], v[26:27]
	v_div_fixup_f64 v[16:17], v[20:21], v[16:17], v[18:19]
	ds_write_b64 v2, v[16:17]
.LBB10_109:                             ;   in Loop: Header=BB10_102 Depth=2
	s_or_b64 exec, exec, s[56:57]
	v_cmp_lt_u32_e32 vcc, s58, v0
	s_waitcnt lgkmcnt(0)
	s_barrier
	s_and_saveexec_b64 s[56:57], vcc
	s_cbranch_execz .LBB10_101
; %bb.110:                              ;   in Loop: Header=BB10_102 Depth=2
	s_add_i32 s54, s42, s54
	s_add_i32 s54, s54, 1
	s_cmp_lt_i32 s54, s13
	s_cselect_b64 s[60:61], -1, 0
	s_and_b64 s[60:61], s[44:45], s[60:61]
	s_and_b64 exec, exec, s[60:61]
	s_cbranch_execz .LBB10_101
; %bb.111:                              ;   in Loop: Header=BB10_102 Depth=2
	s_lshl_b64 s[60:61], s[48:49], 2
	s_and_b32 s60, s60, -8
	v_lshl_add_u64 v[16:17], v[14:15], 0, s[60:61]
	flat_load_dwordx2 v[16:17], v[16:17]
	v_mov_b32_e32 v9, s33
	ds_read_b64 v[18:19], v9 offset:8
	ds_read_b64 v[20:21], v2
	s_waitcnt vmcnt(0) lgkmcnt(0)
	v_fma_f64 v[16:17], -v[16:17], v[18:19], v[20:21]
	ds_write_b64 v2, v[16:17]
	s_branch .LBB10_101
.LBB10_112:                             ;   in Loop: Header=BB10_98 Depth=1
	s_add_u32 s2, s42, 0x200
	s_addc_u32 s3, s43, 0
	s_cmp_ge_i32 s2, s13
	s_cselect_b64 s[44:45], -1, 0
	s_and_b64 vcc, exec, s[44:45]
	s_waitcnt lgkmcnt(0)
	s_barrier
	s_cbranch_vccnz .LBB10_131
; %bb.113:                              ;   in Loop: Header=BB10_98 Depth=1
	v_ashrrev_i32_e32 v9, 31, v8
	v_lshl_add_u64 v[10:11], s[24:25], 0, v[8:9]
	v_lshl_add_u64 v[12:13], s[36:37], 0, v[8:9]
	s_mov_b32 s33, s2
	v_lshl_add_u64 v[10:11], v[10:11], 3, s[16:17]
	v_lshl_add_u64 v[12:13], v[12:13], 3, s[16:17]
	s_mov_b64 s[46:47], 0
	v_mov_b64_e32 v[14:15], v[0:1]
                                        ; implicit-def: $sgpr48_sgpr49
	s_branch .LBB10_116
.LBB10_114:                             ;   in Loop: Header=BB10_116 Depth=2
	v_mad_u64_u32 v[18:19], s[52:53], s6, v9, 0
	v_mov_b32_e32 v20, v19
	v_mad_u64_u32 v[20:21], s[52:53], s7, v9, v[20:21]
	v_mov_b32_e32 v19, v20
	v_lshl_add_u64 v[18:19], v[18:19], 3, s[4:5]
	flat_load_dwordx2 v[20:21], v[18:19]
	s_addk_i32 s33, 0x200
	s_cmp_ge_i32 s33, s13
	s_cselect_b64 s[52:53], -1, 0
	s_andn2_b64 s[48:49], s[48:49], exec
	s_and_b64 s[52:53], s[52:53], exec
	v_lshl_add_u64 v[10:11], v[10:11], 0, s[34:35]
	v_lshl_add_u64 v[12:13], v[12:13], 0, s[34:35]
	s_or_b64 s[48:49], s[48:49], s[52:53]
	s_waitcnt vmcnt(0) lgkmcnt(0)
	v_add_f64 v[16:17], v[20:21], -v[16:17]
	flat_store_dwordx2 v[18:19], v[16:17]
.LBB10_115:                             ;   in Loop: Header=BB10_116 Depth=2
	s_or_b64 exec, exec, s[50:51]
	s_and_b64 s[50:51], exec, s[48:49]
	s_or_b64 s[46:47], s[50:51], s[46:47]
	s_andn2_b64 exec, exec, s[46:47]
	s_cbranch_execz .LBB10_130
.LBB10_116:                             ;   Parent Loop BB10_98 Depth=1
                                        ; =>  This Loop Header: Depth=2
                                        ;       Child Loop BB10_118 Depth 3
	v_add_u32_e32 v9, s33, v0
	v_cmp_gt_i32_e32 vcc, s13, v9
	s_or_b64 s[48:49], s[48:49], exec
	s_and_saveexec_b64 s[50:51], vcc
	s_cbranch_execz .LBB10_115
; %bb.117:                              ;   in Loop: Header=BB10_116 Depth=2
	v_lshl_add_u64 v[18:19], v[14:15], 0, s[30:31]
	v_lshl_add_u64 v[14:15], v[14:15], 0, s[28:29]
	v_mov_b64_e32 v[16:17], 0
	s_mov_b64 s[52:53], 0
	s_mov_b32 s43, 0
	s_mov_b64 s[54:55], s[26:27]
	s_mov_b64 s[58:59], s[22:23]
	v_mov_b64_e32 v[20:21], v[12:13]
	s_mov_b64 s[56:57], s[20:21]
	s_mov_b64 s[60:61], s[18:19]
	v_mov_b64_e32 v[22:23], v[10:11]
.LBB10_118:                             ;   Parent Loop BB10_98 Depth=1
                                        ;     Parent Loop BB10_116 Depth=2
                                        ; =>    This Inner Loop Header: Depth=3
	v_cmp_ne_u32_e32 vcc, s52, v14
	s_xor_b64 s[62:63], s[8:9], -1
	s_add_u32 s66, s42, s52
	s_or_b64 s[64:65], s[62:63], vcc
	s_and_saveexec_b64 s[68:69], s[64:65]
	s_xor_b64 s[64:65], exec, s[68:69]
	s_cbranch_execz .LBB10_121
; %bb.119:                              ;   in Loop: Header=BB10_118 Depth=3
	s_cmp_ge_i32 s66, s13
	s_cbranch_scc1 .LBB10_121
; %bb.120:                              ;   in Loop: Header=BB10_118 Depth=3
	s_lshl_b64 s[68:69], s[54:55], 2
	s_and_b32 s68, s68, -8
	v_lshl_add_u64 v[24:25], v[20:21], 0, s[68:69]
	flat_load_dwordx2 v[24:25], v[24:25]
	v_mov_b32_e32 v19, s43
	ds_read_b64 v[26:27], v19
	s_waitcnt vmcnt(0) lgkmcnt(0)
	v_fmac_f64_e32 v[16:17], v[24:25], v[26:27]
.LBB10_121:                             ;   in Loop: Header=BB10_118 Depth=3
	s_andn2_saveexec_b64 s[64:65], s[64:65]
	s_cbranch_execz .LBB10_123
; %bb.122:                              ;   in Loop: Header=BB10_118 Depth=3
	v_mov_b32_e32 v19, s43
	ds_read_b64 v[24:25], v19
	s_waitcnt lgkmcnt(0)
	v_add_f64 v[16:17], v[16:17], v[24:25]
.LBB10_123:                             ;   in Loop: Header=BB10_118 Depth=3
	s_or_b64 exec, exec, s[64:65]
	v_cmp_ne_u32_e32 vcc, s52, v18
	s_or_b64 s[62:63], s[62:63], vcc
	s_and_saveexec_b64 s[64:65], s[62:63]
	s_xor_b64 s[62:63], exec, s[64:65]
	s_cbranch_execz .LBB10_126
; %bb.124:                              ;   in Loop: Header=BB10_118 Depth=3
	s_add_i32 s66, s66, 1
	s_cmp_ge_i32 s66, s13
	s_cbranch_scc1 .LBB10_126
; %bb.125:                              ;   in Loop: Header=BB10_118 Depth=3
	s_lshl_b64 s[64:65], s[56:57], 2
	s_and_b32 s64, s64, -8
	v_lshl_add_u64 v[24:25], v[22:23], 0, s[64:65]
	flat_load_dwordx2 v[24:25], v[24:25]
	v_mov_b32_e32 v19, s43
	ds_read_b64 v[26:27], v19 offset:8
	s_waitcnt vmcnt(0) lgkmcnt(0)
	v_fmac_f64_e32 v[16:17], v[24:25], v[26:27]
.LBB10_126:                             ;   in Loop: Header=BB10_118 Depth=3
	s_andn2_saveexec_b64 s[62:63], s[62:63]
	s_cbranch_execz .LBB10_128
; %bb.127:                              ;   in Loop: Header=BB10_118 Depth=3
	v_mov_b32_e32 v19, s43
	ds_read_b64 v[24:25], v19 offset:8
	s_waitcnt lgkmcnt(0)
	v_add_f64 v[16:17], v[16:17], v[24:25]
.LBB10_128:                             ;   in Loop: Header=BB10_118 Depth=3
	s_or_b64 exec, exec, s[62:63]
	s_add_u32 s52, s52, 2
	s_addc_u32 s53, s53, 0
	s_add_u32 s62, s60, -8
	s_addc_u32 s63, s61, -1
	s_add_u32 s56, s56, s60
	s_addc_u32 s57, s57, s61
	s_add_i32 s43, s43, 16
	s_add_u32 s60, s58, -8
	s_addc_u32 s61, s59, -1
	s_add_u32 s54, s54, s58
	s_addc_u32 s55, s55, s59
	v_lshl_add_u64 v[22:23], v[22:23], 0, -16
	s_cmpk_eq_i32 s52, 0x200
	v_lshl_add_u64 v[20:21], v[20:21], 0, -16
	s_cbranch_scc1 .LBB10_114
; %bb.129:                              ;   in Loop: Header=BB10_118 Depth=3
	s_mov_b64 s[58:59], s[60:61]
	s_mov_b64 s[60:61], s[62:63]
	s_branch .LBB10_118
.LBB10_130:                             ;   in Loop: Header=BB10_98 Depth=1
	s_or_b64 exec, exec, s[46:47]
.LBB10_131:                             ;   in Loop: Header=BB10_98 Depth=1
	s_and_saveexec_b64 s[42:43], s[0:1]
	s_cbranch_execz .LBB10_97
; %bb.132:                              ;   in Loop: Header=BB10_98 Depth=1
	ds_read_b64 v[10:11], v2
	v_mad_u64_u32 v[12:13], s[0:1], s6, v3, 0
	v_mov_b32_e32 v14, v13
	v_mad_u64_u32 v[14:15], s[0:1], s7, v3, v[14:15]
	v_mov_b32_e32 v13, v14
	v_lshl_add_u64 v[12:13], v[12:13], 3, s[4:5]
	s_waitcnt lgkmcnt(0)
	flat_store_dwordx2 v[12:13], v[10:11]
	s_branch .LBB10_97
.LBB10_133:
	s_mov_b64 s[0:1], 0
.LBB10_134:
	s_andn2_b64 vcc, exec, s[0:1]
	s_cbranch_vccnz .LBB10_180
; %bb.135:
	s_andn2_b64 vcc, exec, s[14:15]
	s_cbranch_vccnz .LBB10_180
; %bb.136:
	v_mov_b32_e32 v1, 0x2000
	v_mov_b32_e32 v3, 0
	s_movk_i32 s26, 0xfe00
	s_add_i32 s45, s13, 0xfffffe00
	v_lshl_or_b32 v32, v0, 3, v1
	v_add_u32_e32 v33, 0xfffffe01, v0
	s_mov_b32 s33, 0
	s_mov_b32 s44, s13
	v_mov_b32_e32 v1, v3
	s_mov_b64 s[12:13], 0xfffffdfd
	s_mov_b64 s[14:15], 0xfffffdfe
	;; [unrolled: 1-line block ×4, first 2 shown]
	s_xor_b64 s[20:21], s[8:9], -1
	s_mov_b64 s[22:23], 0xfffffe02
	s_mov_b64 s[24:25], 0xfffffe03
	s_mov_b32 s27, -1
	s_branch .LBB10_138
.LBB10_137:                             ;   in Loop: Header=BB10_138 Depth=1
	s_or_b64 exec, exec, s[28:29]
	s_add_u32 s44, s44, 0xfffffe00
	s_addc_u32 s33, s33, -1
	s_and_b64 vcc, exec, s[2:3]
	s_mov_b32 s45, s46
	s_waitcnt lgkmcnt(0)
	s_barrier
	s_cbranch_vccnz .LBB10_180
.LBB10_138:                             ; =>This Loop Header: Depth=1
                                        ;     Child Loop BB10_143 Depth 2
                                        ;     Child Loop BB10_158 Depth 2
                                        ;       Child Loop BB10_161 Depth 3
	v_add_u32_e32 v4, s45, v0
	v_cmp_gt_i32_e32 vcc, 0, v4
	v_cmp_lt_i32_e64 s[0:1], -1, v4
	v_mov_b32_e32 v5, v3
	s_and_saveexec_b64 s[2:3], s[0:1]
	s_cbranch_execz .LBB10_140
; %bb.139:                              ;   in Loop: Header=BB10_138 Depth=1
	v_mad_u64_u32 v[6:7], s[28:29], s6, v4, 0
	v_mov_b32_e32 v2, v7
	v_mad_u64_u32 v[8:9], s[28:29], s7, v4, v[2:3]
	v_mov_b32_e32 v7, v8
	v_lshl_add_u64 v[6:7], v[6:7], 3, s[4:5]
	flat_load_dwordx2 v[6:7], v[6:7]
	s_waitcnt vmcnt(0) lgkmcnt(0)
	ds_write_b64 v32, v[6:7]
.LBB10_140:                             ;   in Loop: Header=BB10_138 Depth=1
	s_or_b64 exec, exec, s[2:3]
	v_add_u32_e32 v2, 1, v4
	v_mad_u64_u32 v[8:9], s[2:3], v4, v2, 0
	v_lshlrev_b64 v[8:9], 2, v[8:9]
	v_ashrrev_i32_e32 v7, 31, v4
	v_mov_b32_e32 v6, v4
	v_lshl_add_u64 v[10:11], v[4:5], 3, s[10:11]
	v_and_b32_e32 v8, -8, v8
	s_or_b64 s[2:3], s[8:9], vcc
	v_lshl_add_u64 v[6:7], v[6:7], 3, s[10:11]
	v_lshl_add_u64 v[8:9], v[10:11], 0, v[8:9]
	s_movk_i32 s34, 0x1ff
	s_movk_i32 s35, 0x2ff0
	v_mov_b32_e32 v5, s44
	s_xor_b64 s[28:29], s[2:3], -1
	v_mov_b32_e32 v2, v33
	s_waitcnt lgkmcnt(0)
	s_barrier
	s_branch .LBB10_143
.LBB10_141:                             ;   in Loop: Header=BB10_143 Depth=2
	s_or_b64 exec, exec, s[30:31]
	v_mov_b32_e32 v5, v11
.LBB10_142:                             ;   in Loop: Header=BB10_143 Depth=2
	s_or_b64 exec, exec, s[2:3]
	s_add_i32 s34, s34, -2
	s_add_i32 s35, s35, -16
	s_cmp_eq_u32 s36, 0
	v_add_u32_e32 v2, 2, v2
	s_cbranch_scc1 .LBB10_154
.LBB10_143:                             ;   Parent Loop BB10_138 Depth=1
                                        ; =>  This Inner Loop Header: Depth=2
	v_cmp_eq_u32_e32 vcc, 0, v2
	s_and_b64 s[30:31], vcc, s[28:29]
	s_and_saveexec_b64 s[2:3], s[30:31]
	s_cbranch_execz .LBB10_145
; %bb.144:                              ;   in Loop: Header=BB10_143 Depth=2
	flat_load_dwordx2 v[10:11], v[8:9]
	ds_read_b64 v[12:13], v32
	s_waitcnt vmcnt(0) lgkmcnt(0)
	v_div_scale_f64 v[14:15], s[30:31], v[10:11], v[10:11], v[12:13]
	v_rcp_f64_e32 v[16:17], v[14:15]
	v_div_scale_f64 v[18:19], vcc, v[12:13], v[10:11], v[12:13]
	v_fma_f64 v[20:21], -v[14:15], v[16:17], 1.0
	v_fmac_f64_e32 v[16:17], v[16:17], v[20:21]
	v_fma_f64 v[20:21], -v[14:15], v[16:17], 1.0
	v_fmac_f64_e32 v[16:17], v[16:17], v[20:21]
	v_mul_f64 v[20:21], v[18:19], v[16:17]
	v_fma_f64 v[14:15], -v[14:15], v[20:21], v[18:19]
	v_div_fmas_f64 v[14:15], v[14:15], v[16:17], v[20:21]
	v_div_fixup_f64 v[10:11], v[14:15], v[10:11], v[12:13]
	ds_write_b64 v32, v[10:11]
.LBB10_145:                             ;   in Loop: Header=BB10_143 Depth=2
	s_or_b64 exec, exec, s[2:3]
	v_add_u32_e32 v10, -1, v5
	v_or_b32_e32 v11, v4, v10
	v_cmp_gt_u32_e32 vcc, s34, v0
	v_cmp_lt_i32_e64 s[2:3], -1, v11
	s_and_b64 s[30:31], vcc, s[2:3]
	s_waitcnt lgkmcnt(0)
	s_barrier
	s_and_saveexec_b64 s[2:3], s[30:31]
	s_cbranch_execz .LBB10_147
; %bb.146:                              ;   in Loop: Header=BB10_143 Depth=2
	v_mad_u64_u32 v[12:13], s[30:31], v5, v10, 0
	v_lshlrev_b64 v[12:13], 2, v[12:13]
	v_and_b32_e32 v12, -8, v12
	v_lshl_add_u64 v[12:13], v[6:7], 0, v[12:13]
	flat_load_dwordx2 v[12:13], v[12:13]
	v_mov_b32_e32 v11, s35
	ds_read_b64 v[14:15], v11 offset:8
	ds_read_b64 v[16:17], v32
	s_waitcnt vmcnt(0) lgkmcnt(0)
	v_fma_f64 v[12:13], -v[12:13], v[14:15], v[16:17]
	ds_write_b64 v32, v[12:13]
.LBB10_147:                             ;   in Loop: Header=BB10_143 Depth=2
	s_or_b64 exec, exec, s[2:3]
	s_add_i32 s36, s34, -1
	v_cmp_eq_u32_e32 vcc, s36, v0
	s_and_b64 s[30:31], vcc, s[28:29]
	s_and_saveexec_b64 s[2:3], s[30:31]
	s_cbranch_execz .LBB10_149
; %bb.148:                              ;   in Loop: Header=BB10_143 Depth=2
	flat_load_dwordx2 v[12:13], v[8:9]
	ds_read_b64 v[14:15], v32
	s_waitcnt vmcnt(0) lgkmcnt(0)
	v_div_scale_f64 v[16:17], s[30:31], v[12:13], v[12:13], v[14:15]
	v_rcp_f64_e32 v[18:19], v[16:17]
	v_div_scale_f64 v[20:21], vcc, v[14:15], v[12:13], v[14:15]
	v_fma_f64 v[22:23], -v[16:17], v[18:19], 1.0
	v_fmac_f64_e32 v[18:19], v[18:19], v[22:23]
	v_fma_f64 v[22:23], -v[16:17], v[18:19], 1.0
	v_fmac_f64_e32 v[18:19], v[18:19], v[22:23]
	v_mul_f64 v[22:23], v[20:21], v[18:19]
	v_fma_f64 v[16:17], -v[16:17], v[22:23], v[20:21]
	v_div_fmas_f64 v[16:17], v[16:17], v[18:19], v[22:23]
	v_div_fixup_f64 v[12:13], v[16:17], v[12:13], v[14:15]
	ds_write_b64 v32, v[12:13]
.LBB10_149:                             ;   in Loop: Header=BB10_143 Depth=2
	s_or_b64 exec, exec, s[2:3]
	v_cmp_le_u32_e32 vcc, s36, v0
	v_add_u32_e32 v11, -2, v5
	s_waitcnt lgkmcnt(0)
	s_barrier
	s_and_saveexec_b64 s[2:3], vcc
	s_xor_b64 s[2:3], exec, s[2:3]
; %bb.150:                              ;   in Loop: Header=BB10_143 Depth=2
	v_add_u32_e32 v5, -2, v5
                                        ; implicit-def: $vgpr11
                                        ; implicit-def: $vgpr10
; %bb.151:                              ;   in Loop: Header=BB10_143 Depth=2
	s_andn2_saveexec_b64 s[2:3], s[2:3]
	s_cbranch_execz .LBB10_142
; %bb.152:                              ;   in Loop: Header=BB10_143 Depth=2
	v_or_b32_e32 v5, v4, v11
	v_cmp_lt_i32_e32 vcc, -1, v5
	s_and_saveexec_b64 s[30:31], vcc
	s_cbranch_execz .LBB10_141
; %bb.153:                              ;   in Loop: Header=BB10_143 Depth=2
	v_mad_u64_u32 v[12:13], s[38:39], v10, v11, 0
	v_lshlrev_b64 v[12:13], 2, v[12:13]
	v_and_b32_e32 v12, -8, v12
	v_lshl_add_u64 v[12:13], v[6:7], 0, v[12:13]
	flat_load_dwordx2 v[12:13], v[12:13]
	v_mov_b32_e32 v5, s35
	ds_read_b64 v[14:15], v5
	ds_read_b64 v[16:17], v32
	s_waitcnt vmcnt(0) lgkmcnt(0)
	v_fma_f64 v[12:13], -v[12:13], v[14:15], v[16:17]
	ds_write_b64 v32, v[12:13]
	s_branch .LBB10_141
.LBB10_154:                             ;   in Loop: Header=BB10_138 Depth=1
	s_add_i32 s46, s45, 0xfffffe00
	s_cmp_lt_i32 s45, 1
	s_cselect_b64 s[2:3], -1, 0
	s_and_b64 vcc, exec, s[2:3]
	s_waitcnt lgkmcnt(0)
	s_barrier
	s_cbranch_vccnz .LBB10_178
; %bb.155:                              ;   in Loop: Header=BB10_138 Depth=1
	s_mov_b64 s[28:29], 0
	v_mov_b64_e32 v[6:7], v[0:1]
	s_mov_b32 s47, s46
                                        ; implicit-def: $sgpr30_sgpr31
	s_branch .LBB10_158
.LBB10_156:                             ;   in Loop: Header=BB10_158 Depth=2
	v_mad_u64_u32 v[10:11], s[36:37], s6, v2, 0
	v_mov_b32_e32 v12, v11
	v_mad_u64_u32 v[12:13], s[36:37], s7, v2, v[12:13]
	v_mov_b32_e32 v11, v12
	v_lshl_add_u64 v[10:11], v[10:11], 3, s[4:5]
	flat_load_dwordx2 v[12:13], v[10:11]
	s_add_i32 s38, s47, 0xfffffe00
	s_cmp_lt_i32 s47, 1
	s_cselect_b64 s[36:37], -1, 0
	s_andn2_b64 s[30:31], s[30:31], exec
	s_and_b64 s[36:37], s[36:37], exec
	v_lshl_add_u64 v[6:7], v[6:7], 0, s[26:27]
	s_or_b64 s[30:31], s[30:31], s[36:37]
	s_mov_b32 s47, s38
	s_waitcnt vmcnt(0) lgkmcnt(0)
	v_add_f64 v[8:9], v[12:13], -v[8:9]
	flat_store_dwordx2 v[10:11], v[8:9]
.LBB10_157:                             ;   in Loop: Header=BB10_158 Depth=2
	s_or_b64 exec, exec, s[34:35]
	s_and_b64 s[34:35], exec, s[30:31]
	s_or_b64 s[28:29], s[34:35], s[28:29]
	s_andn2_b64 exec, exec, s[28:29]
	s_cbranch_execz .LBB10_177
.LBB10_158:                             ;   Parent Loop BB10_138 Depth=1
                                        ; =>  This Loop Header: Depth=2
                                        ;       Child Loop BB10_161 Depth 3
	v_add_u32_e32 v2, s47, v0
	v_cmp_lt_i32_e32 vcc, -1, v2
	s_or_b64 s[30:31], s[30:31], exec
	s_and_saveexec_b64 s[34:35], vcc
	s_cbranch_execz .LBB10_157
; %bb.159:                              ;   in Loop: Header=BB10_158 Depth=2
	v_lshl_add_u64 v[10:11], v[2:3], 3, s[10:11]
	v_lshl_add_u64 v[12:13], v[6:7], 0, s[12:13]
	;; [unrolled: 1-line block ×5, first 2 shown]
	v_mov_b64_e32 v[8:9], 0
	s_movk_i32 s48, 0x2000
	s_mov_b64 s[36:37], 0
	s_branch .LBB10_161
.LBB10_160:                             ;   in Loop: Header=BB10_161 Depth=3
	s_or_b64 exec, exec, s[38:39]
	s_waitcnt lgkmcnt(0)
	v_add_f64 v[8:9], v[8:9], v[20:21]
	s_add_i32 s48, s48, 32
	v_add_f64 v[8:9], v[8:9], v[24:25]
	s_add_u32 s36, s36, 4
	v_add_f64 v[8:9], v[8:9], v[26:27]
	s_addc_u32 s37, s37, 0
	s_cmpk_eq_i32 s36, 0x200
	v_add_f64 v[8:9], v[8:9], v[28:29]
	s_cbranch_scc1 .LBB10_156
.LBB10_161:                             ;   Parent Loop BB10_138 Depth=1
                                        ;     Parent Loop BB10_158 Depth=2
                                        ; =>    This Inner Loop Header: Depth=3
	v_cmp_ne_u32_e32 vcc, s36, v18
	s_or_b64 s[42:43], s[20:21], vcc
                                        ; implicit-def: $vgpr20_vgpr21
                                        ; implicit-def: $sgpr38_sgpr39
                                        ; implicit-def: $sgpr40_sgpr41
	s_and_saveexec_b64 s[50:51], s[42:43]
	s_xor_b64 s[42:43], exec, s[50:51]
	s_cbranch_execz .LBB10_163
; %bb.162:                              ;   in Loop: Header=BB10_161 Depth=3
	s_add_u32 s38, s44, s36
	s_addc_u32 s39, s33, s37
	s_add_u32 s40, s38, 0xfffffe01
	s_addc_u32 s41, s39, 0
	;; [unrolled: 2-line block ×3, first 2 shown]
	s_mul_i32 s50, s40, s50
	s_mul_hi_u32 s51, s40, s49
	s_add_i32 s51, s51, s50
	s_mul_i32 s50, s40, s49
	s_lshl_b64 s[50:51], s[50:51], 2
	s_and_b32 s50, s50, -8
	v_lshl_add_u64 v[20:21], v[10:11], 0, s[50:51]
	flat_load_dwordx2 v[20:21], v[20:21]
	v_mov_b32_e32 v5, s48
	ds_read_b64 v[22:23], v5
	s_waitcnt vmcnt(0) lgkmcnt(0)
	v_mul_f64 v[20:21], v[20:21], v[22:23]
.LBB10_163:                             ;   in Loop: Header=BB10_161 Depth=3
	s_or_saveexec_b64 s[42:43], s[42:43]
	v_mov_b64_e32 v[26:27], s[40:41]
	v_mov_b64_e32 v[22:23], s[38:39]
	s_xor_b64 exec, exec, s[42:43]
	s_cbranch_execz .LBB10_165
; %bb.164:                              ;   in Loop: Header=BB10_161 Depth=3
	v_mov_b32_e32 v5, s48
	ds_read_b64 v[20:21], v5
	s_add_u32 s38, s44, s36
	s_addc_u32 s39, s33, s37
	s_add_u32 s40, s38, 0xfffffe01
	s_addc_u32 s41, s39, 0
	v_mov_b64_e32 v[26:27], s[40:41]
	v_mov_b64_e32 v[22:23], s[38:39]
.LBB10_165:                             ;   in Loop: Header=BB10_161 Depth=3
	s_or_b64 exec, exec, s[42:43]
	v_cmp_ne_u32_e32 vcc, s36, v16
	s_or_b64 s[38:39], s[20:21], vcc
	v_lshl_add_u64 v[28:29], v[22:23], 0, s[22:23]
                                        ; implicit-def: $vgpr24_vgpr25
	s_and_saveexec_b64 s[40:41], s[38:39]
	s_xor_b64 s[38:39], exec, s[40:41]
	s_cbranch_execz .LBB10_167
; %bb.166:                              ;   in Loop: Header=BB10_161 Depth=3
	v_lshl_add_u64 v[28:29], v[22:23], 0, s[22:23]
	v_mad_u64_u32 v[24:25], s[40:41], v28, v26, 0
	v_lshlrev_b64 v[24:25], 2, v[24:25]
	v_and_b32_e32 v24, -8, v24
	v_lshl_add_u64 v[24:25], v[10:11], 0, v[24:25]
	flat_load_dwordx2 v[24:25], v[24:25]
	v_mov_b32_e32 v5, s48
	ds_read_b64 v[26:27], v5 offset:8
	s_waitcnt vmcnt(0) lgkmcnt(0)
	v_mul_f64 v[24:25], v[24:25], v[26:27]
.LBB10_167:                             ;   in Loop: Header=BB10_161 Depth=3
	s_andn2_saveexec_b64 s[38:39], s[38:39]
; %bb.168:                              ;   in Loop: Header=BB10_161 Depth=3
	v_mov_b32_e32 v5, s48
	ds_read_b64 v[24:25], v5 offset:8
; %bb.169:                              ;   in Loop: Header=BB10_161 Depth=3
	s_or_b64 exec, exec, s[38:39]
	v_cmp_ne_u32_e32 vcc, s36, v14
	s_or_b64 s[38:39], s[20:21], vcc
	v_lshl_add_u64 v[30:31], v[22:23], 0, s[24:25]
                                        ; implicit-def: $vgpr26_vgpr27
	s_and_saveexec_b64 s[40:41], s[38:39]
	s_xor_b64 s[38:39], exec, s[40:41]
	s_cbranch_execz .LBB10_171
; %bb.170:                              ;   in Loop: Header=BB10_161 Depth=3
	v_lshl_add_u64 v[30:31], v[22:23], 0, s[24:25]
	v_mad_u64_u32 v[26:27], s[40:41], v30, v28, 0
	v_lshlrev_b64 v[26:27], 2, v[26:27]
	v_and_b32_e32 v26, -8, v26
	v_lshl_add_u64 v[26:27], v[10:11], 0, v[26:27]
	flat_load_dwordx2 v[26:27], v[26:27]
	v_mov_b32_e32 v5, s48
	ds_read_b64 v[28:29], v5 offset:16
	s_waitcnt vmcnt(0) lgkmcnt(0)
	v_mul_f64 v[26:27], v[26:27], v[28:29]
.LBB10_171:                             ;   in Loop: Header=BB10_161 Depth=3
	s_andn2_saveexec_b64 s[38:39], s[38:39]
; %bb.172:                              ;   in Loop: Header=BB10_161 Depth=3
	v_mov_b32_e32 v5, s48
	ds_read_b64 v[26:27], v5 offset:16
; %bb.173:                              ;   in Loop: Header=BB10_161 Depth=3
	s_or_b64 exec, exec, s[38:39]
	v_cmp_ne_u32_e32 vcc, s36, v12
	s_or_b64 s[38:39], s[20:21], vcc
                                        ; implicit-def: $vgpr28_vgpr29
	s_and_saveexec_b64 s[40:41], s[38:39]
	s_xor_b64 s[38:39], exec, s[40:41]
	s_cbranch_execz .LBB10_175
; %bb.174:                              ;   in Loop: Header=BB10_161 Depth=3
	v_add_u32_e32 v5, 0xfffffe04, v22
	v_mad_u64_u32 v[22:23], s[40:41], v5, v30, 0
	v_lshlrev_b64 v[22:23], 2, v[22:23]
	v_and_b32_e32 v22, -8, v22
	v_lshl_add_u64 v[22:23], v[10:11], 0, v[22:23]
	flat_load_dwordx2 v[22:23], v[22:23]
	v_mov_b32_e32 v5, s48
	ds_read_b64 v[28:29], v5 offset:24
	s_waitcnt vmcnt(0) lgkmcnt(0)
	v_mul_f64 v[28:29], v[22:23], v[28:29]
.LBB10_175:                             ;   in Loop: Header=BB10_161 Depth=3
	s_andn2_saveexec_b64 s[38:39], s[38:39]
	s_cbranch_execz .LBB10_160
; %bb.176:                              ;   in Loop: Header=BB10_161 Depth=3
	v_mov_b32_e32 v5, s48
	ds_read_b64 v[28:29], v5 offset:24
	s_branch .LBB10_160
.LBB10_177:                             ;   in Loop: Header=BB10_138 Depth=1
	s_or_b64 exec, exec, s[28:29]
.LBB10_178:                             ;   in Loop: Header=BB10_138 Depth=1
	s_and_saveexec_b64 s[28:29], s[0:1]
	s_cbranch_execz .LBB10_137
; %bb.179:                              ;   in Loop: Header=BB10_138 Depth=1
	ds_read_b64 v[6:7], v32
	v_mad_u64_u32 v[8:9], s[0:1], s6, v4, 0
	v_mov_b32_e32 v2, v9
	v_mad_u64_u32 v[4:5], s[0:1], s7, v4, v[2:3]
	v_mov_b32_e32 v9, v4
	v_lshl_add_u64 v[4:5], v[8:9], 3, s[4:5]
	s_waitcnt lgkmcnt(0)
	flat_store_dwordx2 v[4:5], v[6:7]
	s_branch .LBB10_137
.LBB10_180:
	s_endpgm
	.section	.rodata,"a",@progbits
	.p2align	6, 0x0
	.amdhsa_kernel _ZL19rocblas_tpsv_kernelILb1ELi512EPKPKdPKPdEv18rocblas_operation_bbiT1_llT2_lll
		.amdhsa_group_segment_fixed_size 16384
		.amdhsa_private_segment_fixed_size 0
		.amdhsa_kernarg_size 72
		.amdhsa_user_sgpr_count 2
		.amdhsa_user_sgpr_dispatch_ptr 0
		.amdhsa_user_sgpr_queue_ptr 0
		.amdhsa_user_sgpr_kernarg_segment_ptr 1
		.amdhsa_user_sgpr_dispatch_id 0
		.amdhsa_user_sgpr_kernarg_preload_length 0
		.amdhsa_user_sgpr_kernarg_preload_offset 0
		.amdhsa_user_sgpr_private_segment_size 0
		.amdhsa_uses_dynamic_stack 0
		.amdhsa_enable_private_segment 0
		.amdhsa_system_sgpr_workgroup_id_x 1
		.amdhsa_system_sgpr_workgroup_id_y 0
		.amdhsa_system_sgpr_workgroup_id_z 0
		.amdhsa_system_sgpr_workgroup_info 0
		.amdhsa_system_vgpr_workitem_id 0
		.amdhsa_next_free_vgpr 34
		.amdhsa_next_free_sgpr 70
		.amdhsa_accum_offset 36
		.amdhsa_reserve_vcc 1
		.amdhsa_float_round_mode_32 0
		.amdhsa_float_round_mode_16_64 0
		.amdhsa_float_denorm_mode_32 3
		.amdhsa_float_denorm_mode_16_64 3
		.amdhsa_dx10_clamp 1
		.amdhsa_ieee_mode 1
		.amdhsa_fp16_overflow 0
		.amdhsa_tg_split 0
		.amdhsa_exception_fp_ieee_invalid_op 0
		.amdhsa_exception_fp_denorm_src 0
		.amdhsa_exception_fp_ieee_div_zero 0
		.amdhsa_exception_fp_ieee_overflow 0
		.amdhsa_exception_fp_ieee_underflow 0
		.amdhsa_exception_fp_ieee_inexact 0
		.amdhsa_exception_int_div_zero 0
	.end_amdhsa_kernel
	.section	.text._ZL19rocblas_tpsv_kernelILb1ELi512EPKPKdPKPdEv18rocblas_operation_bbiT1_llT2_lll,"axG",@progbits,_ZL19rocblas_tpsv_kernelILb1ELi512EPKPKdPKPdEv18rocblas_operation_bbiT1_llT2_lll,comdat
.Lfunc_end10:
	.size	_ZL19rocblas_tpsv_kernelILb1ELi512EPKPKdPKPdEv18rocblas_operation_bbiT1_llT2_lll, .Lfunc_end10-_ZL19rocblas_tpsv_kernelILb1ELi512EPKPKdPKPdEv18rocblas_operation_bbiT1_llT2_lll
                                        ; -- End function
	.set _ZL19rocblas_tpsv_kernelILb1ELi512EPKPKdPKPdEv18rocblas_operation_bbiT1_llT2_lll.num_vgpr, 34
	.set _ZL19rocblas_tpsv_kernelILb1ELi512EPKPKdPKPdEv18rocblas_operation_bbiT1_llT2_lll.num_agpr, 0
	.set _ZL19rocblas_tpsv_kernelILb1ELi512EPKPKdPKPdEv18rocblas_operation_bbiT1_llT2_lll.numbered_sgpr, 70
	.set _ZL19rocblas_tpsv_kernelILb1ELi512EPKPKdPKPdEv18rocblas_operation_bbiT1_llT2_lll.num_named_barrier, 0
	.set _ZL19rocblas_tpsv_kernelILb1ELi512EPKPKdPKPdEv18rocblas_operation_bbiT1_llT2_lll.private_seg_size, 0
	.set _ZL19rocblas_tpsv_kernelILb1ELi512EPKPKdPKPdEv18rocblas_operation_bbiT1_llT2_lll.uses_vcc, 1
	.set _ZL19rocblas_tpsv_kernelILb1ELi512EPKPKdPKPdEv18rocblas_operation_bbiT1_llT2_lll.uses_flat_scratch, 0
	.set _ZL19rocblas_tpsv_kernelILb1ELi512EPKPKdPKPdEv18rocblas_operation_bbiT1_llT2_lll.has_dyn_sized_stack, 0
	.set _ZL19rocblas_tpsv_kernelILb1ELi512EPKPKdPKPdEv18rocblas_operation_bbiT1_llT2_lll.has_recursion, 0
	.set _ZL19rocblas_tpsv_kernelILb1ELi512EPKPKdPKPdEv18rocblas_operation_bbiT1_llT2_lll.has_indirect_call, 0
	.section	.AMDGPU.csdata,"",@progbits
; Kernel info:
; codeLenInByte = 6956
; TotalNumSgprs: 76
; NumVgprs: 34
; NumAgprs: 0
; TotalNumVgprs: 34
; ScratchSize: 0
; MemoryBound: 0
; FloatMode: 240
; IeeeMode: 1
; LDSByteSize: 16384 bytes/workgroup (compile time only)
; SGPRBlocks: 9
; VGPRBlocks: 4
; NumSGPRsForWavesPerEU: 76
; NumVGPRsForWavesPerEU: 34
; AccumOffset: 36
; Occupancy: 8
; WaveLimiterHint : 1
; COMPUTE_PGM_RSRC2:SCRATCH_EN: 0
; COMPUTE_PGM_RSRC2:USER_SGPR: 2
; COMPUTE_PGM_RSRC2:TRAP_HANDLER: 0
; COMPUTE_PGM_RSRC2:TGID_X_EN: 1
; COMPUTE_PGM_RSRC2:TGID_Y_EN: 0
; COMPUTE_PGM_RSRC2:TGID_Z_EN: 0
; COMPUTE_PGM_RSRC2:TIDIG_COMP_CNT: 0
; COMPUTE_PGM_RSRC3_GFX90A:ACCUM_OFFSET: 8
; COMPUTE_PGM_RSRC3_GFX90A:TG_SPLIT: 0
	.section	.text._ZL19rocblas_tpsv_kernelILb0ELi512EPKPKdPKPdEv18rocblas_operation_bbiT1_llT2_lll,"axG",@progbits,_ZL19rocblas_tpsv_kernelILb0ELi512EPKPKdPKPdEv18rocblas_operation_bbiT1_llT2_lll,comdat
	.globl	_ZL19rocblas_tpsv_kernelILb0ELi512EPKPKdPKPdEv18rocblas_operation_bbiT1_llT2_lll ; -- Begin function _ZL19rocblas_tpsv_kernelILb0ELi512EPKPKdPKPdEv18rocblas_operation_bbiT1_llT2_lll
	.p2align	8
	.type	_ZL19rocblas_tpsv_kernelILb0ELi512EPKPKdPKPdEv18rocblas_operation_bbiT1_llT2_lll,@function
_ZL19rocblas_tpsv_kernelILb0ELi512EPKPKdPKPdEv18rocblas_operation_bbiT1_llT2_lll: ; @_ZL19rocblas_tpsv_kernelILb0ELi512EPKPKdPKPdEv18rocblas_operation_bbiT1_llT2_lll
; %bb.0:
	s_load_dwordx2 s[22:23], s[0:1], 0x0
	s_load_dwordx2 s[12:13], s[0:1], 0x4
	s_load_dwordx4 s[16:19], s[0:1], 0x10
	s_load_dwordx2 s[14:15], s[0:1], 0x28
	s_mov_b32 s3, 0
	s_waitcnt lgkmcnt(0)
	s_bitcmp1_b32 s23, 0
	s_cselect_b64 s[4:5], -1, 0
	s_xor_b64 s[20:21], s[4:5], -1
	s_bitcmp1_b32 s12, 8
	s_cselect_b64 s[8:9], -1, 0
	s_lshl_b64 s[2:3], s[2:3], 3
	s_add_u32 s10, s16, s2
	s_addc_u32 s11, s17, s3
	s_load_dwordx2 s[16:17], s[10:11], 0x0
	s_load_dwordx4 s[4:7], s[0:1], 0x30
	s_lshl_b64 s[18:19], s[18:19], 3
	s_waitcnt lgkmcnt(0)
	s_add_u32 s10, s16, s18
	s_addc_u32 s11, s17, s19
	s_add_u32 s0, s14, s2
	s_addc_u32 s1, s15, s3
	s_load_dwordx2 s[0:1], s[0:1], 0x0
	s_lshl_b64 s[2:3], s[4:5], 3
	s_waitcnt lgkmcnt(0)
	s_add_u32 s4, s0, s2
	s_addc_u32 s5, s1, s3
	s_cmp_gt_i32 s13, 0
	s_cselect_b64 s[14:15], -1, 0
	s_cmpk_lg_i32 s22, 0x6f
	s_mov_b64 s[0:1], -1
	s_cbranch_scc0 .LBB11_93
; %bb.1:
	s_and_b64 vcc, exec, s[20:21]
	s_cbranch_vccz .LBB11_44
; %bb.2:
	s_andn2_b64 vcc, exec, s[14:15]
	s_cbranch_vccnz .LBB11_43
; %bb.3:
	s_lshl_b32 s2, s13, 1
	s_ashr_i32 s1, s13, 31
	s_mov_b32 s0, s13
	s_add_i32 s36, s13, 0xfffffe00
	s_or_b32 s12, s2, 1
	s_lshl_b64 s[0:1], s[0:1], 3
	s_add_u32 s0, s18, s0
	s_addc_u32 s1, s19, s1
	s_add_u32 s0, s16, s0
	s_addc_u32 s1, s17, s1
	v_mov_b32_e32 v1, 0x1000
	s_add_u32 s22, s0, 0xfffff000
	v_add_u32_e32 v2, s13, v0
	v_lshl_or_b32 v1, v0, 3, v1
	v_xor_b32_e32 v20, 0x1ff, v0
	s_addc_u32 s23, s1, -1
	v_add_u32_e32 v21, 0xfffffc00, v2
	s_ashr_i32 s33, s2, 31
	v_mov_b32_e32 v3, 0
	s_movk_i32 s40, 0x400
	s_xor_b64 s[24:25], s[8:9], -1
	s_movk_i32 s41, 0x401
	s_movk_i32 s42, 0x402
	;; [unrolled: 1-line block ×3, first 2 shown]
	s_mov_b64 s[26:27], 0x1000
	s_mov_b64 s[28:29], 0x200
	s_branch .LBB11_5
.LBB11_4:                               ;   in Loop: Header=BB11_5 Depth=1
	s_or_b64 exec, exec, s[30:31]
	s_add_u32 s22, s22, 0xfffff000
	s_addc_u32 s23, s23, -1
	v_add_u32_e32 v21, 0xfffffe00, v21
	s_andn2_b64 vcc, exec, s[2:3]
	s_mov_b32 s36, s44
	s_waitcnt lgkmcnt(0)
	s_barrier
	s_cbranch_vccz .LBB11_43
.LBB11_5:                               ; =>This Loop Header: Depth=1
                                        ;     Child Loop BB11_9 Depth 2
                                        ;     Child Loop BB11_21 Depth 2
                                        ;       Child Loop BB11_24 Depth 3
	v_add_u32_e32 v22, s36, v0
	v_cmp_gt_i32_e64 s[2:3], 0, v22
	v_cmp_lt_i32_e64 s[0:1], -1, v22
	s_and_saveexec_b64 s[30:31], s[0:1]
	s_cbranch_execz .LBB11_7
; %bb.6:                                ;   in Loop: Header=BB11_5 Depth=1
	v_mad_u64_u32 v[4:5], s[34:35], s6, v22, 0
	v_mov_b32_e32 v2, v5
	v_mad_u64_u32 v[6:7], s[34:35], s7, v22, v[2:3]
	v_mov_b32_e32 v5, v6
	v_lshl_add_u64 v[4:5], v[4:5], 3, s[4:5]
	flat_load_dwordx2 v[4:5], v[4:5]
	s_waitcnt vmcnt(0) lgkmcnt(0)
	ds_write_b64 v1, v[4:5]
.LBB11_7:                               ;   in Loop: Header=BB11_5 Depth=1
	s_or_b64 exec, exec, s[30:31]
	v_sub_u32_e32 v2, s12, v22
	v_mad_u64_u32 v[4:5], s[30:31], v22, v2, 0
	v_ashrrev_i32_e32 v6, 31, v2
	v_mov_b32_e32 v2, v5
	v_mad_u64_u32 v[6:7], s[30:31], v22, v6, v[2:3]
	v_mov_b32_e32 v5, v6
	v_lshlrev_b64 v[4:5], 2, v[4:5]
	v_and_b32_e32 v4, -8, v4
	s_or_b64 s[30:31], s[8:9], s[2:3]
	s_not_b32 s37, s36
	v_lshl_add_u64 v[4:5], s[10:11], 0, v[4:5]
	s_movk_i32 s38, 0x1ff
	s_movk_i32 s39, 0x1ff0
	s_xor_b64 s[30:31], s[30:31], -1
	v_mov_b32_e32 v2, v20
	s_waitcnt lgkmcnt(0)
	s_barrier
	s_branch .LBB11_9
.LBB11_8:                               ;   in Loop: Header=BB11_9 Depth=2
	s_or_b64 exec, exec, s[34:35]
	s_add_i32 s38, s38, -2
	s_add_i32 s39, s39, -16
	s_cmp_eq_u32 s44, 0
	v_add_u32_e32 v2, -2, v2
	s_cbranch_scc1 .LBB11_17
.LBB11_9:                               ;   Parent Loop BB11_5 Depth=1
                                        ; =>  This Inner Loop Header: Depth=2
	v_cmp_eq_u32_e32 vcc, 0, v2
	s_and_b64 s[44:45], vcc, s[30:31]
	s_and_saveexec_b64 s[34:35], s[44:45]
	s_cbranch_execz .LBB11_11
; %bb.10:                               ;   in Loop: Header=BB11_9 Depth=2
	flat_load_dwordx2 v[6:7], v[4:5]
	ds_read_b64 v[8:9], v1
	s_waitcnt vmcnt(0) lgkmcnt(0)
	v_div_scale_f64 v[10:11], s[44:45], v[6:7], v[6:7], v[8:9]
	v_rcp_f64_e32 v[12:13], v[10:11]
	v_div_scale_f64 v[14:15], vcc, v[8:9], v[6:7], v[8:9]
	v_fma_f64 v[16:17], -v[10:11], v[12:13], 1.0
	v_fmac_f64_e32 v[12:13], v[12:13], v[16:17]
	v_fma_f64 v[16:17], -v[10:11], v[12:13], 1.0
	v_fmac_f64_e32 v[12:13], v[12:13], v[16:17]
	v_mul_f64 v[16:17], v[14:15], v[12:13]
	v_fma_f64 v[10:11], -v[10:11], v[16:17], v[14:15]
	v_div_fmas_f64 v[10:11], v[10:11], v[12:13], v[16:17]
	v_div_fixup_f64 v[6:7], v[10:11], v[6:7], v[8:9]
	ds_write_b64 v1, v[6:7]
.LBB11_11:                              ;   in Loop: Header=BB11_9 Depth=2
	s_or_b64 exec, exec, s[34:35]
	s_cmp_le_i32 s38, s37
	v_cmp_le_u32_e32 vcc, s38, v0
	s_cselect_b64 s[34:35], -1, 0
	s_or_b64 s[34:35], vcc, s[34:35]
	s_nor_b64 s[44:45], s[2:3], s[34:35]
	s_waitcnt lgkmcnt(0)
	s_barrier
	s_and_saveexec_b64 s[34:35], s[44:45]
	s_cbranch_execz .LBB11_13
; %bb.12:                               ;   in Loop: Header=BB11_9 Depth=2
	v_lshl_add_u64 v[6:7], v[2:3], 3, v[4:5]
	flat_load_dwordx2 v[6:7], v[6:7]
	v_mov_b32_e32 v8, s39
	ds_read_b64 v[8:9], v8 offset:8
	ds_read_b64 v[10:11], v1
	s_waitcnt vmcnt(0) lgkmcnt(0)
	v_fma_f64 v[6:7], -v[6:7], v[8:9], v[10:11]
	ds_write_b64 v1, v[6:7]
.LBB11_13:                              ;   in Loop: Header=BB11_9 Depth=2
	s_or_b64 exec, exec, s[34:35]
	s_add_i32 s44, s38, -1
	v_cmp_eq_u32_e32 vcc, s44, v0
	s_and_b64 s[46:47], vcc, s[30:31]
	s_and_saveexec_b64 s[34:35], s[46:47]
	s_cbranch_execz .LBB11_15
; %bb.14:                               ;   in Loop: Header=BB11_9 Depth=2
	flat_load_dwordx2 v[6:7], v[4:5]
	ds_read_b64 v[8:9], v1
	s_waitcnt vmcnt(0) lgkmcnt(0)
	v_div_scale_f64 v[10:11], s[46:47], v[6:7], v[6:7], v[8:9]
	v_rcp_f64_e32 v[12:13], v[10:11]
	v_div_scale_f64 v[14:15], vcc, v[8:9], v[6:7], v[8:9]
	v_fma_f64 v[16:17], -v[10:11], v[12:13], 1.0
	v_fmac_f64_e32 v[12:13], v[12:13], v[16:17]
	v_fma_f64 v[16:17], -v[10:11], v[12:13], 1.0
	v_fmac_f64_e32 v[12:13], v[12:13], v[16:17]
	v_mul_f64 v[16:17], v[14:15], v[12:13]
	v_fma_f64 v[10:11], -v[10:11], v[16:17], v[14:15]
	v_div_fmas_f64 v[10:11], v[10:11], v[12:13], v[16:17]
	v_div_fixup_f64 v[6:7], v[10:11], v[6:7], v[8:9]
	ds_write_b64 v1, v[6:7]
.LBB11_15:                              ;   in Loop: Header=BB11_9 Depth=2
	s_or_b64 exec, exec, s[34:35]
	s_cmp_le_i32 s44, s37
	v_cmp_le_u32_e32 vcc, s44, v0
	s_cselect_b64 s[34:35], -1, 0
	s_or_b64 s[34:35], vcc, s[34:35]
	s_nor_b64 s[46:47], s[2:3], s[34:35]
	s_waitcnt lgkmcnt(0)
	s_barrier
	s_and_saveexec_b64 s[34:35], s[46:47]
	s_cbranch_execz .LBB11_8
; %bb.16:                               ;   in Loop: Header=BB11_9 Depth=2
	v_add_u32_e32 v6, -1, v2
	v_mov_b32_e32 v7, v3
	v_lshl_add_u64 v[6:7], v[6:7], 3, v[4:5]
	flat_load_dwordx2 v[6:7], v[6:7]
	v_mov_b32_e32 v8, s39
	ds_read_b64 v[8:9], v8
	ds_read_b64 v[10:11], v1
	s_waitcnt vmcnt(0) lgkmcnt(0)
	v_fma_f64 v[6:7], -v[6:7], v[8:9], v[10:11]
	ds_write_b64 v1, v[6:7]
	s_branch .LBB11_8
.LBB11_17:                              ;   in Loop: Header=BB11_5 Depth=1
	s_add_i32 s44, s36, 0xfffffe00
	s_cmp_lt_i32 s36, 1
	s_cselect_b64 s[2:3], -1, 0
	s_and_b64 vcc, exec, s[2:3]
	s_waitcnt lgkmcnt(0)
	s_barrier
	s_cbranch_vccnz .LBB11_41
; %bb.18:                               ;   in Loop: Header=BB11_5 Depth=1
	v_ashrrev_i32_e32 v2, 31, v21
	v_mad_i64_i32 v[4:5], s[30:31], v21, -8, s[22:23]
	v_mov_b32_e32 v7, s33
	v_sub_co_u32_e32 v6, vcc, s12, v21
	s_mov_b64 s[30:31], 0
	s_nop 0
	v_subb_co_u32_e32 v7, vcc, v7, v2, vcc
	v_mov_b32_e32 v2, v21
	v_mov_b32_e32 v23, v0
	s_mov_b32 s45, s44
                                        ; implicit-def: $sgpr34_sgpr35
	s_branch .LBB11_21
.LBB11_19:                              ;   in Loop: Header=BB11_21 Depth=2
	v_mad_u64_u32 v[10:11], s[38:39], s6, v24, 0
	v_mov_b32_e32 v12, v11
	v_mad_u64_u32 v[12:13], s[38:39], s7, v24, v[12:13]
	v_mov_b32_e32 v11, v12
	v_lshl_add_u64 v[10:11], v[10:11], 3, s[4:5]
	flat_load_dwordx2 v[12:13], v[10:11]
	s_add_i32 s46, s45, 0xfffffe00
	s_cmp_lt_i32 s45, 1
	s_cselect_b64 s[38:39], -1, 0
	s_andn2_b64 s[34:35], s[34:35], exec
	s_and_b64 s[38:39], s[38:39], exec
	v_add_u32_e32 v23, 0xfffffe00, v23
	v_lshl_add_u64 v[4:5], v[4:5], 0, s[26:27]
	v_lshl_add_u64 v[6:7], v[6:7], 0, s[28:29]
	v_add_u32_e32 v2, 0xfffffe00, v2
	s_or_b64 s[34:35], s[34:35], s[38:39]
	s_mov_b32 s45, s46
	s_waitcnt vmcnt(0) lgkmcnt(0)
	v_add_f64 v[8:9], v[12:13], -v[8:9]
	flat_store_dwordx2 v[10:11], v[8:9]
.LBB11_20:                              ;   in Loop: Header=BB11_21 Depth=2
	s_or_b64 exec, exec, s[36:37]
	s_and_b64 s[36:37], exec, s[34:35]
	s_or_b64 s[30:31], s[36:37], s[30:31]
	s_andn2_b64 exec, exec, s[30:31]
	s_cbranch_execz .LBB11_40
.LBB11_21:                              ;   Parent Loop BB11_5 Depth=1
                                        ; =>  This Loop Header: Depth=2
                                        ;       Child Loop BB11_24 Depth 3
	v_add_u32_e32 v24, s45, v0
	v_cmp_lt_i32_e32 vcc, -1, v24
	s_or_b64 s[34:35], s[34:35], exec
	s_and_saveexec_b64 s[36:37], vcc
	s_cbranch_execz .LBB11_20
; %bb.22:                               ;   in Loop: Header=BB11_21 Depth=2
	v_mad_u64_u32 v[8:9], s[38:39], v6, v2, 0
	v_mov_b32_e32 v10, v9
	v_mad_u64_u32 v[10:11], s[38:39], v7, v2, v[10:11]
	v_mov_b32_e32 v9, v10
	v_lshlrev_b64 v[8:9], 2, v[8:9]
	v_and_b32_e32 v8, -8, v8
	v_lshl_add_u64 v[10:11], v[4:5], 0, v[8:9]
	v_mov_b64_e32 v[8:9], 0
	s_movk_i32 s46, 0x1000
	s_movk_i32 s47, 0x200
	s_branch .LBB11_24
.LBB11_23:                              ;   in Loop: Header=BB11_24 Depth=3
	s_or_b64 exec, exec, s[38:39]
	s_waitcnt lgkmcnt(0)
	v_add_f64 v[8:9], v[8:9], v[12:13]
	v_add_f64 v[8:9], v[8:9], v[14:15]
	;; [unrolled: 1-line block ×3, first 2 shown]
	s_add_i32 s46, s46, 32
	s_add_i32 s47, s47, -4
	v_add_f64 v[8:9], v[8:9], v[18:19]
	s_cmp_eq_u32 s47, 0
	v_lshl_add_u64 v[10:11], v[10:11], 0, 32
	s_cbranch_scc1 .LBB11_19
.LBB11_24:                              ;   Parent Loop BB11_5 Depth=1
                                        ;     Parent Loop BB11_21 Depth=2
                                        ; =>    This Inner Loop Header: Depth=3
	v_add_u32_e32 v18, s47, v23
	v_cmp_ne_u32_e32 vcc, s40, v18
	s_or_b64 s[38:39], s[24:25], vcc
                                        ; implicit-def: $vgpr12_vgpr13
	s_and_saveexec_b64 s[48:49], s[38:39]
	s_xor_b64 s[38:39], exec, s[48:49]
	s_cbranch_execz .LBB11_26
; %bb.25:                               ;   in Loop: Header=BB11_24 Depth=3
	flat_load_dwordx2 v[12:13], v[10:11]
	v_mov_b32_e32 v14, s46
	ds_read_b64 v[14:15], v14
	s_waitcnt vmcnt(0) lgkmcnt(0)
	v_mul_f64 v[12:13], v[12:13], v[14:15]
.LBB11_26:                              ;   in Loop: Header=BB11_24 Depth=3
	s_andn2_saveexec_b64 s[38:39], s[38:39]
; %bb.27:                               ;   in Loop: Header=BB11_24 Depth=3
	v_mov_b32_e32 v12, s46
	ds_read_b64 v[12:13], v12
; %bb.28:                               ;   in Loop: Header=BB11_24 Depth=3
	s_or_b64 exec, exec, s[38:39]
	v_cmp_ne_u32_e32 vcc, s41, v18
	s_or_b64 s[38:39], s[24:25], vcc
                                        ; implicit-def: $vgpr14_vgpr15
	s_and_saveexec_b64 s[48:49], s[38:39]
	s_xor_b64 s[38:39], exec, s[48:49]
	s_cbranch_execz .LBB11_30
; %bb.29:                               ;   in Loop: Header=BB11_24 Depth=3
	flat_load_dwordx2 v[14:15], v[10:11] offset:8
	v_mov_b32_e32 v16, s46
	ds_read_b64 v[16:17], v16 offset:8
	s_waitcnt vmcnt(0) lgkmcnt(0)
	v_mul_f64 v[14:15], v[14:15], v[16:17]
.LBB11_30:                              ;   in Loop: Header=BB11_24 Depth=3
	s_andn2_saveexec_b64 s[38:39], s[38:39]
; %bb.31:                               ;   in Loop: Header=BB11_24 Depth=3
	v_mov_b32_e32 v14, s46
	ds_read_b64 v[14:15], v14 offset:8
; %bb.32:                               ;   in Loop: Header=BB11_24 Depth=3
	s_or_b64 exec, exec, s[38:39]
	v_cmp_ne_u32_e32 vcc, s42, v18
	s_or_b64 s[38:39], s[24:25], vcc
                                        ; implicit-def: $vgpr16_vgpr17
	s_and_saveexec_b64 s[48:49], s[38:39]
	s_xor_b64 s[38:39], exec, s[48:49]
	s_cbranch_execz .LBB11_34
; %bb.33:                               ;   in Loop: Header=BB11_24 Depth=3
	flat_load_dwordx2 v[16:17], v[10:11] offset:16
	v_mov_b32_e32 v19, s46
	ds_read_b64 v[26:27], v19 offset:16
	s_waitcnt vmcnt(0) lgkmcnt(0)
	v_mul_f64 v[16:17], v[16:17], v[26:27]
.LBB11_34:                              ;   in Loop: Header=BB11_24 Depth=3
	s_andn2_saveexec_b64 s[38:39], s[38:39]
; %bb.35:                               ;   in Loop: Header=BB11_24 Depth=3
	v_mov_b32_e32 v16, s46
	ds_read_b64 v[16:17], v16 offset:16
; %bb.36:                               ;   in Loop: Header=BB11_24 Depth=3
	s_or_b64 exec, exec, s[38:39]
	v_cmp_ne_u32_e32 vcc, s43, v18
	s_or_b64 s[38:39], s[24:25], vcc
                                        ; implicit-def: $vgpr18_vgpr19
	s_and_saveexec_b64 s[48:49], s[38:39]
	s_xor_b64 s[38:39], exec, s[48:49]
	s_cbranch_execz .LBB11_38
; %bb.37:                               ;   in Loop: Header=BB11_24 Depth=3
	flat_load_dwordx2 v[18:19], v[10:11] offset:24
	v_mov_b32_e32 v25, s46
	ds_read_b64 v[26:27], v25 offset:24
	s_waitcnt vmcnt(0) lgkmcnt(0)
	v_mul_f64 v[18:19], v[18:19], v[26:27]
.LBB11_38:                              ;   in Loop: Header=BB11_24 Depth=3
	s_andn2_saveexec_b64 s[38:39], s[38:39]
	s_cbranch_execz .LBB11_23
; %bb.39:                               ;   in Loop: Header=BB11_24 Depth=3
	v_mov_b32_e32 v18, s46
	ds_read_b64 v[18:19], v18 offset:24
	s_branch .LBB11_23
.LBB11_40:                              ;   in Loop: Header=BB11_5 Depth=1
	s_or_b64 exec, exec, s[30:31]
.LBB11_41:                              ;   in Loop: Header=BB11_5 Depth=1
	s_and_saveexec_b64 s[30:31], s[0:1]
	s_cbranch_execz .LBB11_4
; %bb.42:                               ;   in Loop: Header=BB11_5 Depth=1
	ds_read_b64 v[4:5], v1
	v_mad_u64_u32 v[6:7], s[0:1], s6, v22, 0
	v_mov_b32_e32 v2, v7
	v_mad_u64_u32 v[8:9], s[0:1], s7, v22, v[2:3]
	v_mov_b32_e32 v7, v8
	v_lshl_add_u64 v[6:7], v[6:7], 3, s[4:5]
	s_waitcnt lgkmcnt(0)
	flat_store_dwordx2 v[6:7], v[4:5]
	s_branch .LBB11_4
.LBB11_43:
	s_mov_b64 s[0:1], 0
.LBB11_44:
	s_andn2_b64 vcc, exec, s[0:1]
	s_cbranch_vccnz .LBB11_92
; %bb.45:
	s_andn2_b64 vcc, exec, s[14:15]
	s_cbranch_vccnz .LBB11_92
; %bb.46:
	v_mov_b32_e32 v3, 0
	v_mov_b32_e32 v1, v3
	v_mad_u64_u32 v[4:5], s[0:1], v0, v0, v[0:1]
	v_lshlrev_b32_e32 v2, 10, v0
	s_mov_b64 s[0:1], 0x40200
	v_lshl_add_u64 v[6:7], v[2:3], 0, s[0:1]
	v_or_b32_e32 v2, 0x200, v0
	v_lshlrev_b32_e32 v16, 3, v0
	s_mov_b32 s12, 0
	v_add_u32_e32 v1, 0x201, v0
	s_xor_b64 s[22:23], s[8:9], -1
	s_mov_b64 s[24:25], 0x200
	s_mov_b64 s[26:27], 0x80000
	v_mov_b64_e32 v[8:9], v[2:3]
	s_mov_b64 s[28:29], s[10:11]
	s_branch .LBB11_48
.LBB11_47:                              ;   in Loop: Header=BB11_48 Depth=1
	s_or_b64 exec, exec, s[30:31]
	s_add_u32 s28, s28, 0x1000
	v_lshl_add_u64 v[10:11], v[6:7], 0, s[26:27]
	s_addc_u32 s29, s29, 0
	v_lshl_add_u64 v[4:5], v[4:5], 0, v[6:7]
	v_lshl_add_u64 v[8:9], v[8:9], 0, s[24:25]
	v_add_u32_e32 v1, 0x200, v1
	s_and_b64 vcc, exec, s[2:3]
	v_mov_b64_e32 v[6:7], v[10:11]
	s_mov_b32 s12, s33
	s_waitcnt lgkmcnt(0)
	s_barrier
	s_cbranch_vccnz .LBB11_92
.LBB11_48:                              ; =>This Loop Header: Depth=1
                                        ;     Child Loop BB11_52 Depth 2
                                        ;     Child Loop BB11_66 Depth 2
                                        ;       Child Loop BB11_69 Depth 3
	v_add_u32_e32 v17, s12, v0
	v_cmp_le_i32_e32 vcc, s13, v17
	v_cmp_gt_i32_e64 s[0:1], s13, v17
	s_and_saveexec_b64 s[2:3], s[0:1]
	s_cbranch_execz .LBB11_50
; %bb.49:                               ;   in Loop: Header=BB11_48 Depth=1
	v_mad_u64_u32 v[10:11], s[30:31], s6, v17, 0
	v_mov_b32_e32 v2, v11
	v_mad_u64_u32 v[12:13], s[30:31], s7, v17, v[2:3]
	v_mov_b32_e32 v11, v12
	v_lshl_add_u64 v[10:11], v[10:11], 3, s[4:5]
	flat_load_dwordx2 v[10:11], v[10:11]
	s_waitcnt vmcnt(0) lgkmcnt(0)
	ds_write_b64 v16, v[10:11]
.LBB11_50:                              ;   in Loop: Header=BB11_48 Depth=1
	s_or_b64 exec, exec, s[2:3]
	v_or_b32_e32 v2, s12, v0
	v_add_u32_e32 v12, 1, v2
	v_mad_u64_u32 v[12:13], s[30:31], v12, v2, 0
	v_lshlrev_b64 v[10:11], 2, v[4:5]
	v_lshlrev_b64 v[12:13], 2, v[12:13]
	v_and_b32_e32 v10, -8, v10
	v_lshl_add_u64 v[14:15], v[2:3], 3, s[10:11]
	v_and_b32_e32 v12, -8, v12
	v_lshl_add_u64 v[10:11], s[28:29], 0, v[10:11]
	v_cmp_le_i32_e64 s[2:3], s13, v2
	v_lshl_add_u64 v[12:13], v[14:15], 0, v[12:13]
	s_mov_b32 s33, 0
	s_xor_b64 s[30:31], vcc, -1
	s_mov_b32 s36, 0
	s_waitcnt lgkmcnt(0)
	s_barrier
	s_branch .LBB11_52
.LBB11_51:                              ;   in Loop: Header=BB11_52 Depth=2
	s_or_b64 exec, exec, s[34:35]
	s_add_i32 s33, s33, 16
	s_add_i32 s36, s37, 1
	s_cmpk_eq_i32 s36, 0x200
	v_lshl_add_u64 v[10:11], v[10:11], 0, 16
	s_cbranch_scc1 .LBB11_62
.LBB11_52:                              ;   Parent Loop BB11_48 Depth=1
                                        ; =>  This Inner Loop Header: Depth=2
	v_cmp_ne_u32_e32 vcc, s36, v0
	s_or_b64 s[34:35], s[8:9], vcc
	s_nor_b64 s[38:39], s[34:35], s[2:3]
	s_and_saveexec_b64 s[34:35], s[38:39]
	s_cbranch_execz .LBB11_54
; %bb.53:                               ;   in Loop: Header=BB11_52 Depth=2
	flat_load_dwordx2 v[14:15], v[12:13]
	ds_read_b64 v[18:19], v16
	s_waitcnt vmcnt(0) lgkmcnt(0)
	v_div_scale_f64 v[20:21], s[38:39], v[14:15], v[14:15], v[18:19]
	v_rcp_f64_e32 v[22:23], v[20:21]
	v_div_scale_f64 v[24:25], vcc, v[18:19], v[14:15], v[18:19]
	v_fma_f64 v[26:27], -v[20:21], v[22:23], 1.0
	v_fmac_f64_e32 v[22:23], v[22:23], v[26:27]
	v_fma_f64 v[26:27], -v[20:21], v[22:23], 1.0
	v_fmac_f64_e32 v[22:23], v[22:23], v[26:27]
	v_mul_f64 v[26:27], v[24:25], v[22:23]
	v_fma_f64 v[20:21], -v[20:21], v[26:27], v[24:25]
	v_div_fmas_f64 v[20:21], v[20:21], v[22:23], v[26:27]
	v_div_fixup_f64 v[14:15], v[20:21], v[14:15], v[18:19]
	ds_write_b64 v16, v[14:15]
.LBB11_54:                              ;   in Loop: Header=BB11_52 Depth=2
	s_or_b64 exec, exec, s[34:35]
	v_cmp_lt_u32_e32 vcc, s36, v0
	s_waitcnt lgkmcnt(0)
	s_barrier
	s_and_saveexec_b64 s[34:35], vcc
	s_cbranch_execz .LBB11_57
; %bb.55:                               ;   in Loop: Header=BB11_52 Depth=2
	s_add_i32 s37, s12, s36
	s_cmp_lt_i32 s37, s13
	s_cselect_b64 s[38:39], -1, 0
	s_and_b64 s[38:39], s[30:31], s[38:39]
	s_and_b64 exec, exec, s[38:39]
	s_cbranch_execz .LBB11_57
; %bb.56:                               ;   in Loop: Header=BB11_52 Depth=2
	flat_load_dwordx2 v[14:15], v[10:11]
	v_mov_b32_e32 v2, s33
	ds_read_b64 v[18:19], v2
	ds_read_b64 v[20:21], v16
	s_waitcnt vmcnt(0) lgkmcnt(0)
	v_fma_f64 v[14:15], -v[14:15], v[18:19], v[20:21]
	ds_write_b64 v16, v[14:15]
.LBB11_57:                              ;   in Loop: Header=BB11_52 Depth=2
	s_or_b64 exec, exec, s[34:35]
	s_add_i32 s37, s36, 1
	v_cmp_ne_u32_e32 vcc, s37, v0
	s_or_b64 s[34:35], s[8:9], vcc
	s_nor_b64 s[38:39], s[34:35], s[2:3]
	s_and_saveexec_b64 s[34:35], s[38:39]
	s_cbranch_execz .LBB11_59
; %bb.58:                               ;   in Loop: Header=BB11_52 Depth=2
	flat_load_dwordx2 v[14:15], v[12:13]
	ds_read_b64 v[18:19], v16
	s_waitcnt vmcnt(0) lgkmcnt(0)
	v_div_scale_f64 v[20:21], s[38:39], v[14:15], v[14:15], v[18:19]
	v_rcp_f64_e32 v[22:23], v[20:21]
	v_div_scale_f64 v[24:25], vcc, v[18:19], v[14:15], v[18:19]
	v_fma_f64 v[26:27], -v[20:21], v[22:23], 1.0
	v_fmac_f64_e32 v[22:23], v[22:23], v[26:27]
	v_fma_f64 v[26:27], -v[20:21], v[22:23], 1.0
	v_fmac_f64_e32 v[22:23], v[22:23], v[26:27]
	v_mul_f64 v[26:27], v[24:25], v[22:23]
	v_fma_f64 v[20:21], -v[20:21], v[26:27], v[24:25]
	v_div_fmas_f64 v[20:21], v[20:21], v[22:23], v[26:27]
	v_div_fixup_f64 v[14:15], v[20:21], v[14:15], v[18:19]
	ds_write_b64 v16, v[14:15]
.LBB11_59:                              ;   in Loop: Header=BB11_52 Depth=2
	s_or_b64 exec, exec, s[34:35]
	v_cmp_lt_u32_e32 vcc, s37, v0
	s_waitcnt lgkmcnt(0)
	s_barrier
	s_and_saveexec_b64 s[34:35], vcc
	s_cbranch_execz .LBB11_51
; %bb.60:                               ;   in Loop: Header=BB11_52 Depth=2
	s_add_i32 s36, s12, s36
	s_add_i32 s36, s36, 1
	s_cmp_lt_i32 s36, s13
	s_cselect_b64 s[38:39], -1, 0
	s_and_b64 s[38:39], s[30:31], s[38:39]
	s_and_b64 exec, exec, s[38:39]
	s_cbranch_execz .LBB11_51
; %bb.61:                               ;   in Loop: Header=BB11_52 Depth=2
	flat_load_dwordx2 v[14:15], v[10:11] offset:8
	v_mov_b32_e32 v2, s33
	ds_read_b64 v[18:19], v2 offset:8
	ds_read_b64 v[20:21], v16
	s_waitcnt vmcnt(0) lgkmcnt(0)
	v_fma_f64 v[14:15], -v[14:15], v[18:19], v[20:21]
	ds_write_b64 v16, v[14:15]
	s_branch .LBB11_51
.LBB11_62:                              ;   in Loop: Header=BB11_48 Depth=1
	s_add_i32 s33, s12, 0x200
	s_cmp_ge_i32 s33, s13
	s_cselect_b64 s[2:3], -1, 0
	s_and_b64 vcc, exec, s[2:3]
	s_waitcnt lgkmcnt(0)
	s_barrier
	s_cbranch_vccnz .LBB11_90
; %bb.63:                               ;   in Loop: Header=BB11_48 Depth=1
	s_mov_b64 s[30:31], 0
	v_mov_b32_e32 v2, v1
	v_mov_b64_e32 v[10:11], v[8:9]
	v_mov_b32_e32 v18, v0
	s_mov_b32 s40, s33
                                        ; implicit-def: $sgpr34_sgpr35
	s_branch .LBB11_66
.LBB11_64:                              ;   in Loop: Header=BB11_66 Depth=2
	v_mad_u64_u32 v[14:15], s[38:39], s6, v19, 0
	v_mov_b32_e32 v20, v15
	v_mad_u64_u32 v[20:21], s[38:39], s7, v19, v[20:21]
	v_mov_b32_e32 v15, v20
	v_lshl_add_u64 v[14:15], v[14:15], 3, s[4:5]
	flat_load_dwordx2 v[20:21], v[14:15]
	s_addk_i32 s40, 0x200
	s_cmp_ge_i32 s40, s13
	s_cselect_b64 s[38:39], -1, 0
	s_andn2_b64 s[34:35], s[34:35], exec
	s_and_b64 s[38:39], s[38:39], exec
	v_lshl_add_u64 v[10:11], v[10:11], 0, s[24:25]
	v_add_u32_e32 v2, 0x200, v2
	s_or_b64 s[34:35], s[34:35], s[38:39]
	s_waitcnt vmcnt(0) lgkmcnt(0)
	v_add_f64 v[12:13], v[20:21], -v[12:13]
	flat_store_dwordx2 v[14:15], v[12:13]
.LBB11_65:                              ;   in Loop: Header=BB11_66 Depth=2
	s_or_b64 exec, exec, s[36:37]
	s_and_b64 s[36:37], exec, s[34:35]
	s_or_b64 s[30:31], s[36:37], s[30:31]
	s_andn2_b64 exec, exec, s[30:31]
	s_cbranch_execz .LBB11_89
.LBB11_66:                              ;   Parent Loop BB11_48 Depth=1
                                        ; =>  This Loop Header: Depth=2
                                        ;       Child Loop BB11_69 Depth 3
	v_add_u32_e32 v19, s40, v0
	v_cmp_gt_i32_e32 vcc, s13, v19
	s_or_b64 s[34:35], s[34:35], exec
	s_and_saveexec_b64 s[36:37], vcc
	s_cbranch_execz .LBB11_65
; %bb.67:                               ;   in Loop: Header=BB11_66 Depth=2
	v_mad_u64_u32 v[12:13], s[38:39], v10, v2, 0
	v_mov_b32_e32 v14, v13
	v_mad_u64_u32 v[14:15], s[38:39], v11, v2, v[14:15]
	v_mov_b32_e32 v13, v14
	v_lshlrev_b64 v[12:13], 2, v[12:13]
	v_and_b32_e32 v12, -8, v12
	v_lshl_add_u64 v[14:15], s[28:29], 0, v[12:13]
	v_add_u32_e32 v20, 0x1fd, v18
	v_add_u32_e32 v21, 0x1fe, v18
	;; [unrolled: 1-line block ×4, first 2 shown]
	v_mov_b64_e32 v[12:13], 0
	s_mov_b32 s41, 0
	s_mov_b32 s42, 0
	s_branch .LBB11_69
.LBB11_68:                              ;   in Loop: Header=BB11_69 Depth=3
	s_or_b64 exec, exec, s[38:39]
	s_add_i32 s42, s42, 4
	s_add_i32 s41, s41, 32
	s_cmpk_eq_i32 s42, 0x200
	v_lshl_add_u64 v[14:15], v[14:15], 0, 32
	s_cbranch_scc1 .LBB11_64
.LBB11_69:                              ;   Parent Loop BB11_48 Depth=1
                                        ;     Parent Loop BB11_66 Depth=2
                                        ; =>    This Inner Loop Header: Depth=3
	v_cmp_ne_u32_e32 vcc, s42, v18
	s_add_i32 s43, s12, s42
	s_or_b64 s[38:39], s[22:23], vcc
	s_and_saveexec_b64 s[44:45], s[38:39]
	s_xor_b64 s[38:39], exec, s[44:45]
	s_cbranch_execz .LBB11_72
; %bb.70:                               ;   in Loop: Header=BB11_69 Depth=3
	s_cmp_ge_i32 s43, s13
	s_cbranch_scc1 .LBB11_72
; %bb.71:                               ;   in Loop: Header=BB11_69 Depth=3
	flat_load_dwordx2 v[24:25], v[14:15]
	v_mov_b32_e32 v23, s41
	ds_read_b64 v[26:27], v23
	s_waitcnt vmcnt(0) lgkmcnt(0)
	v_fmac_f64_e32 v[12:13], v[24:25], v[26:27]
.LBB11_72:                              ;   in Loop: Header=BB11_69 Depth=3
	s_andn2_saveexec_b64 s[38:39], s[38:39]
	s_cbranch_execz .LBB11_74
; %bb.73:                               ;   in Loop: Header=BB11_69 Depth=3
	v_mov_b32_e32 v23, s41
	ds_read_b64 v[24:25], v23
	s_waitcnt lgkmcnt(0)
	v_add_f64 v[12:13], v[12:13], v[24:25]
.LBB11_74:                              ;   in Loop: Header=BB11_69 Depth=3
	s_or_b64 exec, exec, s[38:39]
	v_cmp_ne_u32_e32 vcc, s42, v22
	s_or_b64 s[38:39], s[22:23], vcc
	s_and_saveexec_b64 s[44:45], s[38:39]
	s_xor_b64 s[38:39], exec, s[44:45]
	s_cbranch_execz .LBB11_77
; %bb.75:                               ;   in Loop: Header=BB11_69 Depth=3
	s_add_i32 s44, s43, 1
	s_cmp_ge_i32 s44, s13
	s_cbranch_scc1 .LBB11_77
; %bb.76:                               ;   in Loop: Header=BB11_69 Depth=3
	flat_load_dwordx2 v[24:25], v[14:15] offset:8
	v_mov_b32_e32 v23, s41
	ds_read_b64 v[26:27], v23 offset:8
	s_waitcnt vmcnt(0) lgkmcnt(0)
	v_fmac_f64_e32 v[12:13], v[24:25], v[26:27]
.LBB11_77:                              ;   in Loop: Header=BB11_69 Depth=3
	s_andn2_saveexec_b64 s[38:39], s[38:39]
	s_cbranch_execz .LBB11_79
; %bb.78:                               ;   in Loop: Header=BB11_69 Depth=3
	v_mov_b32_e32 v23, s41
	ds_read_b64 v[24:25], v23 offset:8
	s_waitcnt lgkmcnt(0)
	v_add_f64 v[12:13], v[12:13], v[24:25]
.LBB11_79:                              ;   in Loop: Header=BB11_69 Depth=3
	s_or_b64 exec, exec, s[38:39]
	v_cmp_ne_u32_e32 vcc, s42, v21
	s_or_b64 s[38:39], s[22:23], vcc
	s_and_saveexec_b64 s[44:45], s[38:39]
	s_xor_b64 s[38:39], exec, s[44:45]
	s_cbranch_execz .LBB11_82
; %bb.80:                               ;   in Loop: Header=BB11_69 Depth=3
	s_add_i32 s44, s43, 2
	s_cmp_ge_i32 s44, s13
	s_cbranch_scc1 .LBB11_82
; %bb.81:                               ;   in Loop: Header=BB11_69 Depth=3
	flat_load_dwordx2 v[24:25], v[14:15] offset:16
	v_mov_b32_e32 v23, s41
	ds_read_b64 v[26:27], v23 offset:16
	s_waitcnt vmcnt(0) lgkmcnt(0)
	v_fmac_f64_e32 v[12:13], v[24:25], v[26:27]
.LBB11_82:                              ;   in Loop: Header=BB11_69 Depth=3
	s_andn2_saveexec_b64 s[38:39], s[38:39]
	s_cbranch_execz .LBB11_84
; %bb.83:                               ;   in Loop: Header=BB11_69 Depth=3
	v_mov_b32_e32 v23, s41
	ds_read_b64 v[24:25], v23 offset:16
	s_waitcnt lgkmcnt(0)
	v_add_f64 v[12:13], v[12:13], v[24:25]
.LBB11_84:                              ;   in Loop: Header=BB11_69 Depth=3
	s_or_b64 exec, exec, s[38:39]
	v_cmp_ne_u32_e32 vcc, s42, v20
	s_or_b64 s[38:39], s[22:23], vcc
	s_and_saveexec_b64 s[44:45], s[38:39]
	s_xor_b64 s[38:39], exec, s[44:45]
	s_cbranch_execz .LBB11_87
; %bb.85:                               ;   in Loop: Header=BB11_69 Depth=3
	s_add_i32 s43, s43, 3
	s_cmp_ge_i32 s43, s13
	s_cbranch_scc1 .LBB11_87
; %bb.86:                               ;   in Loop: Header=BB11_69 Depth=3
	flat_load_dwordx2 v[24:25], v[14:15] offset:24
	v_mov_b32_e32 v23, s41
	ds_read_b64 v[26:27], v23 offset:24
	s_waitcnt vmcnt(0) lgkmcnt(0)
	v_fmac_f64_e32 v[12:13], v[24:25], v[26:27]
.LBB11_87:                              ;   in Loop: Header=BB11_69 Depth=3
	s_andn2_saveexec_b64 s[38:39], s[38:39]
	s_cbranch_execz .LBB11_68
; %bb.88:                               ;   in Loop: Header=BB11_69 Depth=3
	v_mov_b32_e32 v23, s41
	ds_read_b64 v[24:25], v23 offset:24
	s_waitcnt lgkmcnt(0)
	v_add_f64 v[12:13], v[12:13], v[24:25]
	s_branch .LBB11_68
.LBB11_89:                              ;   in Loop: Header=BB11_48 Depth=1
	s_or_b64 exec, exec, s[30:31]
.LBB11_90:                              ;   in Loop: Header=BB11_48 Depth=1
	s_and_saveexec_b64 s[30:31], s[0:1]
	s_cbranch_execz .LBB11_47
; %bb.91:                               ;   in Loop: Header=BB11_48 Depth=1
	ds_read_b64 v[10:11], v16
	v_mad_u64_u32 v[12:13], s[0:1], s6, v17, 0
	v_mov_b32_e32 v2, v13
	v_mad_u64_u32 v[14:15], s[0:1], s7, v17, v[2:3]
	v_mov_b32_e32 v13, v14
	v_lshl_add_u64 v[12:13], v[12:13], 3, s[4:5]
	s_waitcnt lgkmcnt(0)
	flat_store_dwordx2 v[12:13], v[10:11]
	s_branch .LBB11_47
.LBB11_92:
	s_mov_b64 s[0:1], 0
.LBB11_93:
	s_andn2_b64 vcc, exec, s[0:1]
	s_cbranch_vccnz .LBB11_180
; %bb.94:
	s_mov_b64 s[0:1], -1
	s_and_b64 vcc, exec, s[20:21]
	s_cbranch_vccz .LBB11_134
; %bb.95:
	s_andn2_b64 vcc, exec, s[14:15]
	s_cbranch_vccnz .LBB11_133
; %bb.96:
	s_lshl_b32 s20, s13, 1
	s_or_b32 s12, s20, 1
	s_ashr_i32 s21, s20, 31
	s_add_u32 s16, s16, s18
	s_addc_u32 s17, s17, s19
	s_lshl_b64 s[0:1], s[20:21], 9
	s_add_u32 s40, s0, 0xfffbfe00
	s_addc_u32 s41, s1, -1
	s_lshl_b64 s[2:3], s[20:21], 1
	s_add_u32 s18, s2, -6
	s_addc_u32 s19, s3, -1
	v_mov_b32_e32 v1, 0
	s_add_u32 s38, s0, 0xfffc0200
	v_lshlrev_b32_e32 v2, 3, v0
	v_mov_b32_e32 v3, v1
	s_addc_u32 s39, s1, -1
	v_lshl_add_u64 v[4:5], s[16:17], 0, v[2:3]
	s_add_u32 s22, s2, -2
	v_lshl_add_u64 v[6:7], v[4:5], 0, -8
	s_addc_u32 s23, s3, -1
	v_or_b32_e32 v8, 0x200, v0
	s_mov_b64 s[24:25], -1
	s_mov_b64 s[26:27], 0
	s_mov_b64 s[28:29], 0x200
	;; [unrolled: 1-line block ×6, first 2 shown]
	s_branch .LBB11_98
.LBB11_97:                              ;   in Loop: Header=BB11_98 Depth=1
	s_or_b64 exec, exec, s[42:43]
	s_add_u32 s0, s40, 0xfff80000
	s_addc_u32 s1, s41, -1
	s_add_u32 s20, s20, s40
	s_addc_u32 s21, s21, s41
	s_add_u32 s18, s18, 0xfffff800
	s_addc_u32 s19, s19, -1
	s_add_u32 s40, s38, 0xfff80000
	s_addc_u32 s41, s39, -1
	s_add_u32 s26, s26, s38
	s_addc_u32 s27, s27, s39
	s_add_u32 s22, s22, 0xfffff800
	s_addc_u32 s23, s23, -1
	s_add_u32 s24, s24, 0xfffffe00
	s_addc_u32 s25, s25, -1
	s_add_u32 s36, s36, 0xfffffe00
	v_add_u32_e32 v8, 0x200, v8
	s_addc_u32 s37, s37, -1
	s_and_b64 vcc, exec, s[44:45]
	s_mov_b64 s[38:39], s[40:41]
	s_mov_b64 s[40:41], s[0:1]
	;; [unrolled: 1-line block ×3, first 2 shown]
	s_waitcnt lgkmcnt(0)
	s_barrier
	s_cbranch_vccnz .LBB11_133
.LBB11_98:                              ; =>This Loop Header: Depth=1
                                        ;     Child Loop BB11_102 Depth 2
                                        ;     Child Loop BB11_116 Depth 2
                                        ;       Child Loop BB11_118 Depth 3
	v_add_u32_e32 v3, s42, v0
	v_cmp_le_i32_e32 vcc, s13, v3
	v_cmp_gt_i32_e64 s[0:1], s13, v3
	s_and_saveexec_b64 s[2:3], s[0:1]
	s_cbranch_execz .LBB11_100
; %bb.99:                               ;   in Loop: Header=BB11_98 Depth=1
	v_mad_u64_u32 v[10:11], s[44:45], s6, v3, 0
	v_mov_b32_e32 v12, v11
	v_mad_u64_u32 v[12:13], s[44:45], s7, v3, v[12:13]
	v_mov_b32_e32 v11, v12
	v_lshl_add_u64 v[10:11], v[10:11], 3, s[4:5]
	flat_load_dwordx2 v[10:11], v[10:11]
	s_waitcnt vmcnt(0) lgkmcnt(0)
	ds_write_b64 v2, v[10:11]
.LBB11_100:                             ;   in Loop: Header=BB11_98 Depth=1
	s_or_b64 exec, exec, s[2:3]
	v_or_b32_e32 v9, s42, v0
	v_sub_u32_e32 v10, s12, v9
	v_ashrrev_i32_e32 v13, 31, v10
	v_mad_u64_u32 v[10:11], s[44:45], v10, v9, 0
	v_mov_b32_e32 v12, v11
	v_mad_u64_u32 v[12:13], s[44:45], v13, v9, v[12:13]
	v_mov_b32_e32 v11, v12
	v_lshlrev_b64 v[10:11], 2, v[10:11]
	v_and_b32_e32 v10, -8, v10
	v_cmp_le_i32_e64 s[2:3], s13, v9
	v_lshl_add_u64 v[10:11], s[10:11], 0, v[10:11]
	s_mov_b32 s33, 0
	s_mov_b64 s[54:55], 0
	s_xor_b64 s[44:45], vcc, -1
	s_mov_b64 s[46:47], s[26:27]
	s_mov_b64 s[50:51], s[22:23]
	v_mov_b64_e32 v[12:13], v[4:5]
	s_mov_b64 s[48:49], s[20:21]
	s_mov_b64 s[52:53], s[18:19]
	v_mov_b64_e32 v[14:15], v[6:7]
	s_waitcnt lgkmcnt(0)
	s_barrier
	s_branch .LBB11_102
.LBB11_101:                             ;   in Loop: Header=BB11_102 Depth=2
	s_or_b64 exec, exec, s[56:57]
	s_add_i32 s33, s33, 16
	s_add_u32 s56, s52, -8
	s_addc_u32 s57, s53, -1
	s_add_u32 s48, s48, s52
	s_addc_u32 s49, s49, s53
	s_add_u32 s52, s50, -8
	s_addc_u32 s53, s51, -1
	s_add_u32 s46, s46, s50
	s_addc_u32 s47, s47, s51
	s_add_u32 s54, s58, 1
	s_addc_u32 s55, s55, 0
	v_lshl_add_u64 v[14:15], v[14:15], 0, -16
	v_lshl_add_u64 v[12:13], v[12:13], 0, -16
	s_cmpk_eq_i32 s54, 0x200
	s_mov_b64 s[50:51], s[52:53]
	s_mov_b64 s[52:53], s[56:57]
	s_cbranch_scc1 .LBB11_112
.LBB11_102:                             ;   Parent Loop BB11_98 Depth=1
                                        ; =>  This Inner Loop Header: Depth=2
	v_cmp_ne_u32_e32 vcc, s54, v0
	s_or_b64 s[56:57], s[8:9], vcc
	s_nor_b64 s[58:59], s[56:57], s[2:3]
	s_and_saveexec_b64 s[56:57], s[58:59]
	s_cbranch_execz .LBB11_104
; %bb.103:                              ;   in Loop: Header=BB11_102 Depth=2
	flat_load_dwordx2 v[16:17], v[10:11]
	ds_read_b64 v[18:19], v2
	s_waitcnt vmcnt(0) lgkmcnt(0)
	v_div_scale_f64 v[20:21], s[58:59], v[16:17], v[16:17], v[18:19]
	v_rcp_f64_e32 v[22:23], v[20:21]
	v_div_scale_f64 v[24:25], vcc, v[18:19], v[16:17], v[18:19]
	v_fma_f64 v[26:27], -v[20:21], v[22:23], 1.0
	v_fmac_f64_e32 v[22:23], v[22:23], v[26:27]
	v_fma_f64 v[26:27], -v[20:21], v[22:23], 1.0
	v_fmac_f64_e32 v[22:23], v[22:23], v[26:27]
	v_mul_f64 v[26:27], v[24:25], v[22:23]
	v_fma_f64 v[20:21], -v[20:21], v[26:27], v[24:25]
	v_div_fmas_f64 v[20:21], v[20:21], v[22:23], v[26:27]
	v_div_fixup_f64 v[16:17], v[20:21], v[16:17], v[18:19]
	ds_write_b64 v2, v[16:17]
.LBB11_104:                             ;   in Loop: Header=BB11_102 Depth=2
	s_or_b64 exec, exec, s[56:57]
	v_cmp_lt_u32_e32 vcc, s54, v0
	s_waitcnt lgkmcnt(0)
	s_barrier
	s_and_saveexec_b64 s[56:57], vcc
	s_cbranch_execz .LBB11_107
; %bb.105:                              ;   in Loop: Header=BB11_102 Depth=2
	s_add_i32 s58, s42, s54
	s_cmp_lt_i32 s58, s13
	s_cselect_b64 s[58:59], -1, 0
	s_and_b64 s[58:59], s[44:45], s[58:59]
	s_and_b64 exec, exec, s[58:59]
	s_cbranch_execz .LBB11_107
; %bb.106:                              ;   in Loop: Header=BB11_102 Depth=2
	s_lshl_b64 s[58:59], s[46:47], 2
	s_and_b32 s58, s58, -8
	v_lshl_add_u64 v[16:17], v[12:13], 0, s[58:59]
	flat_load_dwordx2 v[16:17], v[16:17]
	v_mov_b32_e32 v9, s33
	ds_read_b64 v[18:19], v9
	ds_read_b64 v[20:21], v2
	s_waitcnt vmcnt(0) lgkmcnt(0)
	v_fma_f64 v[16:17], -v[16:17], v[18:19], v[20:21]
	ds_write_b64 v2, v[16:17]
.LBB11_107:                             ;   in Loop: Header=BB11_102 Depth=2
	s_or_b64 exec, exec, s[56:57]
	s_add_u32 s58, s54, 1
	v_cmp_ne_u32_e32 vcc, s58, v0
	s_addc_u32 s55, s55, 0
	s_or_b64 s[56:57], s[8:9], vcc
	s_nor_b64 s[60:61], s[56:57], s[2:3]
	s_and_saveexec_b64 s[56:57], s[60:61]
	s_cbranch_execz .LBB11_109
; %bb.108:                              ;   in Loop: Header=BB11_102 Depth=2
	flat_load_dwordx2 v[16:17], v[10:11]
	ds_read_b64 v[18:19], v2
	s_waitcnt vmcnt(0) lgkmcnt(0)
	v_div_scale_f64 v[20:21], s[60:61], v[16:17], v[16:17], v[18:19]
	v_rcp_f64_e32 v[22:23], v[20:21]
	v_div_scale_f64 v[24:25], vcc, v[18:19], v[16:17], v[18:19]
	v_fma_f64 v[26:27], -v[20:21], v[22:23], 1.0
	v_fmac_f64_e32 v[22:23], v[22:23], v[26:27]
	v_fma_f64 v[26:27], -v[20:21], v[22:23], 1.0
	v_fmac_f64_e32 v[22:23], v[22:23], v[26:27]
	v_mul_f64 v[26:27], v[24:25], v[22:23]
	v_fma_f64 v[20:21], -v[20:21], v[26:27], v[24:25]
	v_div_fmas_f64 v[20:21], v[20:21], v[22:23], v[26:27]
	v_div_fixup_f64 v[16:17], v[20:21], v[16:17], v[18:19]
	ds_write_b64 v2, v[16:17]
.LBB11_109:                             ;   in Loop: Header=BB11_102 Depth=2
	s_or_b64 exec, exec, s[56:57]
	v_cmp_lt_u32_e32 vcc, s58, v0
	s_waitcnt lgkmcnt(0)
	s_barrier
	s_and_saveexec_b64 s[56:57], vcc
	s_cbranch_execz .LBB11_101
; %bb.110:                              ;   in Loop: Header=BB11_102 Depth=2
	s_add_i32 s54, s42, s54
	s_add_i32 s54, s54, 1
	s_cmp_lt_i32 s54, s13
	s_cselect_b64 s[60:61], -1, 0
	s_and_b64 s[60:61], s[44:45], s[60:61]
	s_and_b64 exec, exec, s[60:61]
	s_cbranch_execz .LBB11_101
; %bb.111:                              ;   in Loop: Header=BB11_102 Depth=2
	s_lshl_b64 s[60:61], s[48:49], 2
	s_and_b32 s60, s60, -8
	v_lshl_add_u64 v[16:17], v[14:15], 0, s[60:61]
	flat_load_dwordx2 v[16:17], v[16:17]
	v_mov_b32_e32 v9, s33
	ds_read_b64 v[18:19], v9 offset:8
	ds_read_b64 v[20:21], v2
	s_waitcnt vmcnt(0) lgkmcnt(0)
	v_fma_f64 v[16:17], -v[16:17], v[18:19], v[20:21]
	ds_write_b64 v2, v[16:17]
	s_branch .LBB11_101
.LBB11_112:                             ;   in Loop: Header=BB11_98 Depth=1
	s_add_u32 s2, s42, 0x200
	s_addc_u32 s3, s43, 0
	s_cmp_ge_i32 s2, s13
	s_cselect_b64 s[44:45], -1, 0
	s_and_b64 vcc, exec, s[44:45]
	s_waitcnt lgkmcnt(0)
	s_barrier
	s_cbranch_vccnz .LBB11_131
; %bb.113:                              ;   in Loop: Header=BB11_98 Depth=1
	v_ashrrev_i32_e32 v9, 31, v8
	v_lshl_add_u64 v[10:11], s[24:25], 0, v[8:9]
	v_lshl_add_u64 v[12:13], s[36:37], 0, v[8:9]
	s_mov_b32 s33, s2
	v_lshl_add_u64 v[10:11], v[10:11], 3, s[16:17]
	v_lshl_add_u64 v[12:13], v[12:13], 3, s[16:17]
	s_mov_b64 s[46:47], 0
	v_mov_b64_e32 v[14:15], v[0:1]
                                        ; implicit-def: $sgpr48_sgpr49
	s_branch .LBB11_116
.LBB11_114:                             ;   in Loop: Header=BB11_116 Depth=2
	v_mad_u64_u32 v[18:19], s[52:53], s6, v9, 0
	v_mov_b32_e32 v20, v19
	v_mad_u64_u32 v[20:21], s[52:53], s7, v9, v[20:21]
	v_mov_b32_e32 v19, v20
	v_lshl_add_u64 v[18:19], v[18:19], 3, s[4:5]
	flat_load_dwordx2 v[20:21], v[18:19]
	s_addk_i32 s33, 0x200
	s_cmp_ge_i32 s33, s13
	s_cselect_b64 s[52:53], -1, 0
	s_andn2_b64 s[48:49], s[48:49], exec
	s_and_b64 s[52:53], s[52:53], exec
	v_lshl_add_u64 v[10:11], v[10:11], 0, s[34:35]
	v_lshl_add_u64 v[12:13], v[12:13], 0, s[34:35]
	s_or_b64 s[48:49], s[48:49], s[52:53]
	s_waitcnt vmcnt(0) lgkmcnt(0)
	v_add_f64 v[16:17], v[20:21], -v[16:17]
	flat_store_dwordx2 v[18:19], v[16:17]
.LBB11_115:                             ;   in Loop: Header=BB11_116 Depth=2
	s_or_b64 exec, exec, s[50:51]
	s_and_b64 s[50:51], exec, s[48:49]
	s_or_b64 s[46:47], s[50:51], s[46:47]
	s_andn2_b64 exec, exec, s[46:47]
	s_cbranch_execz .LBB11_130
.LBB11_116:                             ;   Parent Loop BB11_98 Depth=1
                                        ; =>  This Loop Header: Depth=2
                                        ;       Child Loop BB11_118 Depth 3
	v_add_u32_e32 v9, s33, v0
	v_cmp_gt_i32_e32 vcc, s13, v9
	s_or_b64 s[48:49], s[48:49], exec
	s_and_saveexec_b64 s[50:51], vcc
	s_cbranch_execz .LBB11_115
; %bb.117:                              ;   in Loop: Header=BB11_116 Depth=2
	v_lshl_add_u64 v[18:19], v[14:15], 0, s[30:31]
	v_lshl_add_u64 v[14:15], v[14:15], 0, s[28:29]
	v_mov_b64_e32 v[16:17], 0
	s_mov_b64 s[52:53], 0
	s_mov_b32 s43, 0
	s_mov_b64 s[54:55], s[26:27]
	s_mov_b64 s[58:59], s[22:23]
	v_mov_b64_e32 v[20:21], v[12:13]
	s_mov_b64 s[56:57], s[20:21]
	s_mov_b64 s[60:61], s[18:19]
	v_mov_b64_e32 v[22:23], v[10:11]
.LBB11_118:                             ;   Parent Loop BB11_98 Depth=1
                                        ;     Parent Loop BB11_116 Depth=2
                                        ; =>    This Inner Loop Header: Depth=3
	v_cmp_ne_u32_e32 vcc, s52, v14
	s_xor_b64 s[62:63], s[8:9], -1
	s_add_u32 s66, s42, s52
	s_or_b64 s[64:65], s[62:63], vcc
	s_and_saveexec_b64 s[68:69], s[64:65]
	s_xor_b64 s[64:65], exec, s[68:69]
	s_cbranch_execz .LBB11_121
; %bb.119:                              ;   in Loop: Header=BB11_118 Depth=3
	s_cmp_ge_i32 s66, s13
	s_cbranch_scc1 .LBB11_121
; %bb.120:                              ;   in Loop: Header=BB11_118 Depth=3
	s_lshl_b64 s[68:69], s[54:55], 2
	s_and_b32 s68, s68, -8
	v_lshl_add_u64 v[24:25], v[20:21], 0, s[68:69]
	flat_load_dwordx2 v[24:25], v[24:25]
	v_mov_b32_e32 v19, s43
	ds_read_b64 v[26:27], v19
	s_waitcnt vmcnt(0) lgkmcnt(0)
	v_fmac_f64_e32 v[16:17], v[24:25], v[26:27]
.LBB11_121:                             ;   in Loop: Header=BB11_118 Depth=3
	s_andn2_saveexec_b64 s[64:65], s[64:65]
	s_cbranch_execz .LBB11_123
; %bb.122:                              ;   in Loop: Header=BB11_118 Depth=3
	v_mov_b32_e32 v19, s43
	ds_read_b64 v[24:25], v19
	s_waitcnt lgkmcnt(0)
	v_add_f64 v[16:17], v[16:17], v[24:25]
.LBB11_123:                             ;   in Loop: Header=BB11_118 Depth=3
	s_or_b64 exec, exec, s[64:65]
	v_cmp_ne_u32_e32 vcc, s52, v18
	s_or_b64 s[62:63], s[62:63], vcc
	s_and_saveexec_b64 s[64:65], s[62:63]
	s_xor_b64 s[62:63], exec, s[64:65]
	s_cbranch_execz .LBB11_126
; %bb.124:                              ;   in Loop: Header=BB11_118 Depth=3
	s_add_i32 s66, s66, 1
	s_cmp_ge_i32 s66, s13
	s_cbranch_scc1 .LBB11_126
; %bb.125:                              ;   in Loop: Header=BB11_118 Depth=3
	s_lshl_b64 s[64:65], s[56:57], 2
	s_and_b32 s64, s64, -8
	v_lshl_add_u64 v[24:25], v[22:23], 0, s[64:65]
	flat_load_dwordx2 v[24:25], v[24:25]
	v_mov_b32_e32 v19, s43
	ds_read_b64 v[26:27], v19 offset:8
	s_waitcnt vmcnt(0) lgkmcnt(0)
	v_fmac_f64_e32 v[16:17], v[24:25], v[26:27]
.LBB11_126:                             ;   in Loop: Header=BB11_118 Depth=3
	s_andn2_saveexec_b64 s[62:63], s[62:63]
	s_cbranch_execz .LBB11_128
; %bb.127:                              ;   in Loop: Header=BB11_118 Depth=3
	v_mov_b32_e32 v19, s43
	ds_read_b64 v[24:25], v19 offset:8
	s_waitcnt lgkmcnt(0)
	v_add_f64 v[16:17], v[16:17], v[24:25]
.LBB11_128:                             ;   in Loop: Header=BB11_118 Depth=3
	s_or_b64 exec, exec, s[62:63]
	s_add_u32 s52, s52, 2
	s_addc_u32 s53, s53, 0
	s_add_u32 s62, s60, -8
	s_addc_u32 s63, s61, -1
	s_add_u32 s56, s56, s60
	s_addc_u32 s57, s57, s61
	s_add_i32 s43, s43, 16
	s_add_u32 s60, s58, -8
	s_addc_u32 s61, s59, -1
	s_add_u32 s54, s54, s58
	s_addc_u32 s55, s55, s59
	v_lshl_add_u64 v[22:23], v[22:23], 0, -16
	s_cmpk_eq_i32 s52, 0x200
	v_lshl_add_u64 v[20:21], v[20:21], 0, -16
	s_cbranch_scc1 .LBB11_114
; %bb.129:                              ;   in Loop: Header=BB11_118 Depth=3
	s_mov_b64 s[58:59], s[60:61]
	s_mov_b64 s[60:61], s[62:63]
	s_branch .LBB11_118
.LBB11_130:                             ;   in Loop: Header=BB11_98 Depth=1
	s_or_b64 exec, exec, s[46:47]
.LBB11_131:                             ;   in Loop: Header=BB11_98 Depth=1
	s_and_saveexec_b64 s[42:43], s[0:1]
	s_cbranch_execz .LBB11_97
; %bb.132:                              ;   in Loop: Header=BB11_98 Depth=1
	ds_read_b64 v[10:11], v2
	v_mad_u64_u32 v[12:13], s[0:1], s6, v3, 0
	v_mov_b32_e32 v14, v13
	v_mad_u64_u32 v[14:15], s[0:1], s7, v3, v[14:15]
	v_mov_b32_e32 v13, v14
	v_lshl_add_u64 v[12:13], v[12:13], 3, s[4:5]
	s_waitcnt lgkmcnt(0)
	flat_store_dwordx2 v[12:13], v[10:11]
	s_branch .LBB11_97
.LBB11_133:
	s_mov_b64 s[0:1], 0
.LBB11_134:
	s_andn2_b64 vcc, exec, s[0:1]
	s_cbranch_vccnz .LBB11_180
; %bb.135:
	s_andn2_b64 vcc, exec, s[14:15]
	s_cbranch_vccnz .LBB11_180
; %bb.136:
	v_mov_b32_e32 v1, 0x1000
	v_mov_b32_e32 v3, 0
	s_movk_i32 s26, 0xfe00
	s_add_i32 s45, s13, 0xfffffe00
	v_lshl_or_b32 v32, v0, 3, v1
	v_add_u32_e32 v33, 0xfffffe01, v0
	s_mov_b32 s33, 0
	s_mov_b32 s44, s13
	v_mov_b32_e32 v1, v3
	s_mov_b64 s[12:13], 0xfffffdfd
	s_mov_b64 s[14:15], 0xfffffdfe
	;; [unrolled: 1-line block ×4, first 2 shown]
	s_xor_b64 s[20:21], s[8:9], -1
	s_mov_b64 s[22:23], 0xfffffe02
	s_mov_b64 s[24:25], 0xfffffe03
	s_mov_b32 s27, -1
	s_branch .LBB11_138
.LBB11_137:                             ;   in Loop: Header=BB11_138 Depth=1
	s_or_b64 exec, exec, s[28:29]
	s_add_u32 s44, s44, 0xfffffe00
	s_addc_u32 s33, s33, -1
	s_and_b64 vcc, exec, s[2:3]
	s_mov_b32 s45, s46
	s_waitcnt lgkmcnt(0)
	s_barrier
	s_cbranch_vccnz .LBB11_180
.LBB11_138:                             ; =>This Loop Header: Depth=1
                                        ;     Child Loop BB11_143 Depth 2
                                        ;     Child Loop BB11_158 Depth 2
                                        ;       Child Loop BB11_161 Depth 3
	v_add_u32_e32 v4, s45, v0
	v_cmp_gt_i32_e32 vcc, 0, v4
	v_cmp_lt_i32_e64 s[0:1], -1, v4
	v_mov_b32_e32 v5, v3
	s_and_saveexec_b64 s[2:3], s[0:1]
	s_cbranch_execz .LBB11_140
; %bb.139:                              ;   in Loop: Header=BB11_138 Depth=1
	v_mad_u64_u32 v[6:7], s[28:29], s6, v4, 0
	v_mov_b32_e32 v2, v7
	v_mad_u64_u32 v[8:9], s[28:29], s7, v4, v[2:3]
	v_mov_b32_e32 v7, v8
	v_lshl_add_u64 v[6:7], v[6:7], 3, s[4:5]
	flat_load_dwordx2 v[6:7], v[6:7]
	s_waitcnt vmcnt(0) lgkmcnt(0)
	ds_write_b64 v32, v[6:7]
.LBB11_140:                             ;   in Loop: Header=BB11_138 Depth=1
	s_or_b64 exec, exec, s[2:3]
	v_add_u32_e32 v2, 1, v4
	v_mad_u64_u32 v[8:9], s[2:3], v4, v2, 0
	v_lshlrev_b64 v[8:9], 2, v[8:9]
	v_ashrrev_i32_e32 v7, 31, v4
	v_mov_b32_e32 v6, v4
	v_lshl_add_u64 v[10:11], v[4:5], 3, s[10:11]
	v_and_b32_e32 v8, -8, v8
	s_or_b64 s[2:3], s[8:9], vcc
	v_lshl_add_u64 v[6:7], v[6:7], 3, s[10:11]
	v_lshl_add_u64 v[8:9], v[10:11], 0, v[8:9]
	s_movk_i32 s34, 0x1ff
	s_movk_i32 s35, 0x1ff0
	v_mov_b32_e32 v5, s44
	s_xor_b64 s[28:29], s[2:3], -1
	v_mov_b32_e32 v2, v33
	s_waitcnt lgkmcnt(0)
	s_barrier
	s_branch .LBB11_143
.LBB11_141:                             ;   in Loop: Header=BB11_143 Depth=2
	s_or_b64 exec, exec, s[30:31]
	v_mov_b32_e32 v5, v11
.LBB11_142:                             ;   in Loop: Header=BB11_143 Depth=2
	s_or_b64 exec, exec, s[2:3]
	s_add_i32 s34, s34, -2
	s_add_i32 s35, s35, -16
	s_cmp_eq_u32 s36, 0
	v_add_u32_e32 v2, 2, v2
	s_cbranch_scc1 .LBB11_154
.LBB11_143:                             ;   Parent Loop BB11_138 Depth=1
                                        ; =>  This Inner Loop Header: Depth=2
	v_cmp_eq_u32_e32 vcc, 0, v2
	s_and_b64 s[30:31], vcc, s[28:29]
	s_and_saveexec_b64 s[2:3], s[30:31]
	s_cbranch_execz .LBB11_145
; %bb.144:                              ;   in Loop: Header=BB11_143 Depth=2
	flat_load_dwordx2 v[10:11], v[8:9]
	ds_read_b64 v[12:13], v32
	s_waitcnt vmcnt(0) lgkmcnt(0)
	v_div_scale_f64 v[14:15], s[30:31], v[10:11], v[10:11], v[12:13]
	v_rcp_f64_e32 v[16:17], v[14:15]
	v_div_scale_f64 v[18:19], vcc, v[12:13], v[10:11], v[12:13]
	v_fma_f64 v[20:21], -v[14:15], v[16:17], 1.0
	v_fmac_f64_e32 v[16:17], v[16:17], v[20:21]
	v_fma_f64 v[20:21], -v[14:15], v[16:17], 1.0
	v_fmac_f64_e32 v[16:17], v[16:17], v[20:21]
	v_mul_f64 v[20:21], v[18:19], v[16:17]
	v_fma_f64 v[14:15], -v[14:15], v[20:21], v[18:19]
	v_div_fmas_f64 v[14:15], v[14:15], v[16:17], v[20:21]
	v_div_fixup_f64 v[10:11], v[14:15], v[10:11], v[12:13]
	ds_write_b64 v32, v[10:11]
.LBB11_145:                             ;   in Loop: Header=BB11_143 Depth=2
	s_or_b64 exec, exec, s[2:3]
	v_add_u32_e32 v10, -1, v5
	v_or_b32_e32 v11, v4, v10
	v_cmp_gt_u32_e32 vcc, s34, v0
	v_cmp_lt_i32_e64 s[2:3], -1, v11
	s_and_b64 s[30:31], vcc, s[2:3]
	s_waitcnt lgkmcnt(0)
	s_barrier
	s_and_saveexec_b64 s[2:3], s[30:31]
	s_cbranch_execz .LBB11_147
; %bb.146:                              ;   in Loop: Header=BB11_143 Depth=2
	v_mad_u64_u32 v[12:13], s[30:31], v5, v10, 0
	v_lshlrev_b64 v[12:13], 2, v[12:13]
	v_and_b32_e32 v12, -8, v12
	v_lshl_add_u64 v[12:13], v[6:7], 0, v[12:13]
	flat_load_dwordx2 v[12:13], v[12:13]
	v_mov_b32_e32 v11, s35
	ds_read_b64 v[14:15], v11 offset:8
	ds_read_b64 v[16:17], v32
	s_waitcnt vmcnt(0) lgkmcnt(0)
	v_fma_f64 v[12:13], -v[12:13], v[14:15], v[16:17]
	ds_write_b64 v32, v[12:13]
.LBB11_147:                             ;   in Loop: Header=BB11_143 Depth=2
	s_or_b64 exec, exec, s[2:3]
	s_add_i32 s36, s34, -1
	v_cmp_eq_u32_e32 vcc, s36, v0
	s_and_b64 s[30:31], vcc, s[28:29]
	s_and_saveexec_b64 s[2:3], s[30:31]
	s_cbranch_execz .LBB11_149
; %bb.148:                              ;   in Loop: Header=BB11_143 Depth=2
	flat_load_dwordx2 v[12:13], v[8:9]
	ds_read_b64 v[14:15], v32
	s_waitcnt vmcnt(0) lgkmcnt(0)
	v_div_scale_f64 v[16:17], s[30:31], v[12:13], v[12:13], v[14:15]
	v_rcp_f64_e32 v[18:19], v[16:17]
	v_div_scale_f64 v[20:21], vcc, v[14:15], v[12:13], v[14:15]
	v_fma_f64 v[22:23], -v[16:17], v[18:19], 1.0
	v_fmac_f64_e32 v[18:19], v[18:19], v[22:23]
	v_fma_f64 v[22:23], -v[16:17], v[18:19], 1.0
	v_fmac_f64_e32 v[18:19], v[18:19], v[22:23]
	v_mul_f64 v[22:23], v[20:21], v[18:19]
	v_fma_f64 v[16:17], -v[16:17], v[22:23], v[20:21]
	v_div_fmas_f64 v[16:17], v[16:17], v[18:19], v[22:23]
	v_div_fixup_f64 v[12:13], v[16:17], v[12:13], v[14:15]
	ds_write_b64 v32, v[12:13]
.LBB11_149:                             ;   in Loop: Header=BB11_143 Depth=2
	s_or_b64 exec, exec, s[2:3]
	v_cmp_le_u32_e32 vcc, s36, v0
	v_add_u32_e32 v11, -2, v5
	s_waitcnt lgkmcnt(0)
	s_barrier
	s_and_saveexec_b64 s[2:3], vcc
	s_xor_b64 s[2:3], exec, s[2:3]
; %bb.150:                              ;   in Loop: Header=BB11_143 Depth=2
	v_add_u32_e32 v5, -2, v5
                                        ; implicit-def: $vgpr11
                                        ; implicit-def: $vgpr10
; %bb.151:                              ;   in Loop: Header=BB11_143 Depth=2
	s_andn2_saveexec_b64 s[2:3], s[2:3]
	s_cbranch_execz .LBB11_142
; %bb.152:                              ;   in Loop: Header=BB11_143 Depth=2
	v_or_b32_e32 v5, v4, v11
	v_cmp_lt_i32_e32 vcc, -1, v5
	s_and_saveexec_b64 s[30:31], vcc
	s_cbranch_execz .LBB11_141
; %bb.153:                              ;   in Loop: Header=BB11_143 Depth=2
	v_mad_u64_u32 v[12:13], s[38:39], v10, v11, 0
	v_lshlrev_b64 v[12:13], 2, v[12:13]
	v_and_b32_e32 v12, -8, v12
	v_lshl_add_u64 v[12:13], v[6:7], 0, v[12:13]
	flat_load_dwordx2 v[12:13], v[12:13]
	v_mov_b32_e32 v5, s35
	ds_read_b64 v[14:15], v5
	ds_read_b64 v[16:17], v32
	s_waitcnt vmcnt(0) lgkmcnt(0)
	v_fma_f64 v[12:13], -v[12:13], v[14:15], v[16:17]
	ds_write_b64 v32, v[12:13]
	s_branch .LBB11_141
.LBB11_154:                             ;   in Loop: Header=BB11_138 Depth=1
	s_add_i32 s46, s45, 0xfffffe00
	s_cmp_lt_i32 s45, 1
	s_cselect_b64 s[2:3], -1, 0
	s_and_b64 vcc, exec, s[2:3]
	s_waitcnt lgkmcnt(0)
	s_barrier
	s_cbranch_vccnz .LBB11_178
; %bb.155:                              ;   in Loop: Header=BB11_138 Depth=1
	s_mov_b64 s[28:29], 0
	v_mov_b64_e32 v[6:7], v[0:1]
	s_mov_b32 s47, s46
                                        ; implicit-def: $sgpr30_sgpr31
	s_branch .LBB11_158
.LBB11_156:                             ;   in Loop: Header=BB11_158 Depth=2
	v_mad_u64_u32 v[10:11], s[36:37], s6, v2, 0
	v_mov_b32_e32 v12, v11
	v_mad_u64_u32 v[12:13], s[36:37], s7, v2, v[12:13]
	v_mov_b32_e32 v11, v12
	v_lshl_add_u64 v[10:11], v[10:11], 3, s[4:5]
	flat_load_dwordx2 v[12:13], v[10:11]
	s_add_i32 s38, s47, 0xfffffe00
	s_cmp_lt_i32 s47, 1
	s_cselect_b64 s[36:37], -1, 0
	s_andn2_b64 s[30:31], s[30:31], exec
	s_and_b64 s[36:37], s[36:37], exec
	v_lshl_add_u64 v[6:7], v[6:7], 0, s[26:27]
	s_or_b64 s[30:31], s[30:31], s[36:37]
	s_mov_b32 s47, s38
	s_waitcnt vmcnt(0) lgkmcnt(0)
	v_add_f64 v[8:9], v[12:13], -v[8:9]
	flat_store_dwordx2 v[10:11], v[8:9]
.LBB11_157:                             ;   in Loop: Header=BB11_158 Depth=2
	s_or_b64 exec, exec, s[34:35]
	s_and_b64 s[34:35], exec, s[30:31]
	s_or_b64 s[28:29], s[34:35], s[28:29]
	s_andn2_b64 exec, exec, s[28:29]
	s_cbranch_execz .LBB11_177
.LBB11_158:                             ;   Parent Loop BB11_138 Depth=1
                                        ; =>  This Loop Header: Depth=2
                                        ;       Child Loop BB11_161 Depth 3
	v_add_u32_e32 v2, s47, v0
	v_cmp_lt_i32_e32 vcc, -1, v2
	s_or_b64 s[30:31], s[30:31], exec
	s_and_saveexec_b64 s[34:35], vcc
	s_cbranch_execz .LBB11_157
; %bb.159:                              ;   in Loop: Header=BB11_158 Depth=2
	v_lshl_add_u64 v[10:11], v[2:3], 3, s[10:11]
	v_lshl_add_u64 v[12:13], v[6:7], 0, s[12:13]
	;; [unrolled: 1-line block ×5, first 2 shown]
	v_mov_b64_e32 v[8:9], 0
	s_movk_i32 s48, 0x1000
	s_mov_b64 s[36:37], 0
	s_branch .LBB11_161
.LBB11_160:                             ;   in Loop: Header=BB11_161 Depth=3
	s_or_b64 exec, exec, s[38:39]
	s_waitcnt lgkmcnt(0)
	v_add_f64 v[8:9], v[8:9], v[20:21]
	s_add_i32 s48, s48, 32
	v_add_f64 v[8:9], v[8:9], v[24:25]
	s_add_u32 s36, s36, 4
	v_add_f64 v[8:9], v[8:9], v[26:27]
	s_addc_u32 s37, s37, 0
	s_cmpk_eq_i32 s36, 0x200
	v_add_f64 v[8:9], v[8:9], v[28:29]
	s_cbranch_scc1 .LBB11_156
.LBB11_161:                             ;   Parent Loop BB11_138 Depth=1
                                        ;     Parent Loop BB11_158 Depth=2
                                        ; =>    This Inner Loop Header: Depth=3
	v_cmp_ne_u32_e32 vcc, s36, v18
	s_or_b64 s[42:43], s[20:21], vcc
                                        ; implicit-def: $vgpr20_vgpr21
                                        ; implicit-def: $sgpr38_sgpr39
                                        ; implicit-def: $sgpr40_sgpr41
	s_and_saveexec_b64 s[50:51], s[42:43]
	s_xor_b64 s[42:43], exec, s[50:51]
	s_cbranch_execz .LBB11_163
; %bb.162:                              ;   in Loop: Header=BB11_161 Depth=3
	s_add_u32 s38, s44, s36
	s_addc_u32 s39, s33, s37
	s_add_u32 s40, s38, 0xfffffe01
	s_addc_u32 s41, s39, 0
	;; [unrolled: 2-line block ×3, first 2 shown]
	s_mul_i32 s50, s40, s50
	s_mul_hi_u32 s51, s40, s49
	s_add_i32 s51, s51, s50
	s_mul_i32 s50, s40, s49
	s_lshl_b64 s[50:51], s[50:51], 2
	s_and_b32 s50, s50, -8
	v_lshl_add_u64 v[20:21], v[10:11], 0, s[50:51]
	flat_load_dwordx2 v[20:21], v[20:21]
	v_mov_b32_e32 v5, s48
	ds_read_b64 v[22:23], v5
	s_waitcnt vmcnt(0) lgkmcnt(0)
	v_mul_f64 v[20:21], v[20:21], v[22:23]
.LBB11_163:                             ;   in Loop: Header=BB11_161 Depth=3
	s_or_saveexec_b64 s[42:43], s[42:43]
	v_mov_b64_e32 v[26:27], s[40:41]
	v_mov_b64_e32 v[22:23], s[38:39]
	s_xor_b64 exec, exec, s[42:43]
	s_cbranch_execz .LBB11_165
; %bb.164:                              ;   in Loop: Header=BB11_161 Depth=3
	v_mov_b32_e32 v5, s48
	ds_read_b64 v[20:21], v5
	s_add_u32 s38, s44, s36
	s_addc_u32 s39, s33, s37
	s_add_u32 s40, s38, 0xfffffe01
	s_addc_u32 s41, s39, 0
	v_mov_b64_e32 v[26:27], s[40:41]
	v_mov_b64_e32 v[22:23], s[38:39]
.LBB11_165:                             ;   in Loop: Header=BB11_161 Depth=3
	s_or_b64 exec, exec, s[42:43]
	v_cmp_ne_u32_e32 vcc, s36, v16
	s_or_b64 s[38:39], s[20:21], vcc
	v_lshl_add_u64 v[28:29], v[22:23], 0, s[22:23]
                                        ; implicit-def: $vgpr24_vgpr25
	s_and_saveexec_b64 s[40:41], s[38:39]
	s_xor_b64 s[38:39], exec, s[40:41]
	s_cbranch_execz .LBB11_167
; %bb.166:                              ;   in Loop: Header=BB11_161 Depth=3
	v_lshl_add_u64 v[28:29], v[22:23], 0, s[22:23]
	v_mad_u64_u32 v[24:25], s[40:41], v28, v26, 0
	v_lshlrev_b64 v[24:25], 2, v[24:25]
	v_and_b32_e32 v24, -8, v24
	v_lshl_add_u64 v[24:25], v[10:11], 0, v[24:25]
	flat_load_dwordx2 v[24:25], v[24:25]
	v_mov_b32_e32 v5, s48
	ds_read_b64 v[26:27], v5 offset:8
	s_waitcnt vmcnt(0) lgkmcnt(0)
	v_mul_f64 v[24:25], v[24:25], v[26:27]
.LBB11_167:                             ;   in Loop: Header=BB11_161 Depth=3
	s_andn2_saveexec_b64 s[38:39], s[38:39]
; %bb.168:                              ;   in Loop: Header=BB11_161 Depth=3
	v_mov_b32_e32 v5, s48
	ds_read_b64 v[24:25], v5 offset:8
; %bb.169:                              ;   in Loop: Header=BB11_161 Depth=3
	s_or_b64 exec, exec, s[38:39]
	v_cmp_ne_u32_e32 vcc, s36, v14
	s_or_b64 s[38:39], s[20:21], vcc
	v_lshl_add_u64 v[30:31], v[22:23], 0, s[24:25]
                                        ; implicit-def: $vgpr26_vgpr27
	s_and_saveexec_b64 s[40:41], s[38:39]
	s_xor_b64 s[38:39], exec, s[40:41]
	s_cbranch_execz .LBB11_171
; %bb.170:                              ;   in Loop: Header=BB11_161 Depth=3
	v_lshl_add_u64 v[30:31], v[22:23], 0, s[24:25]
	v_mad_u64_u32 v[26:27], s[40:41], v30, v28, 0
	v_lshlrev_b64 v[26:27], 2, v[26:27]
	v_and_b32_e32 v26, -8, v26
	v_lshl_add_u64 v[26:27], v[10:11], 0, v[26:27]
	flat_load_dwordx2 v[26:27], v[26:27]
	v_mov_b32_e32 v5, s48
	ds_read_b64 v[28:29], v5 offset:16
	s_waitcnt vmcnt(0) lgkmcnt(0)
	v_mul_f64 v[26:27], v[26:27], v[28:29]
.LBB11_171:                             ;   in Loop: Header=BB11_161 Depth=3
	s_andn2_saveexec_b64 s[38:39], s[38:39]
; %bb.172:                              ;   in Loop: Header=BB11_161 Depth=3
	v_mov_b32_e32 v5, s48
	ds_read_b64 v[26:27], v5 offset:16
; %bb.173:                              ;   in Loop: Header=BB11_161 Depth=3
	s_or_b64 exec, exec, s[38:39]
	v_cmp_ne_u32_e32 vcc, s36, v12
	s_or_b64 s[38:39], s[20:21], vcc
                                        ; implicit-def: $vgpr28_vgpr29
	s_and_saveexec_b64 s[40:41], s[38:39]
	s_xor_b64 s[38:39], exec, s[40:41]
	s_cbranch_execz .LBB11_175
; %bb.174:                              ;   in Loop: Header=BB11_161 Depth=3
	v_add_u32_e32 v5, 0xfffffe04, v22
	v_mad_u64_u32 v[22:23], s[40:41], v5, v30, 0
	v_lshlrev_b64 v[22:23], 2, v[22:23]
	v_and_b32_e32 v22, -8, v22
	v_lshl_add_u64 v[22:23], v[10:11], 0, v[22:23]
	flat_load_dwordx2 v[22:23], v[22:23]
	v_mov_b32_e32 v5, s48
	ds_read_b64 v[28:29], v5 offset:24
	s_waitcnt vmcnt(0) lgkmcnt(0)
	v_mul_f64 v[28:29], v[22:23], v[28:29]
.LBB11_175:                             ;   in Loop: Header=BB11_161 Depth=3
	s_andn2_saveexec_b64 s[38:39], s[38:39]
	s_cbranch_execz .LBB11_160
; %bb.176:                              ;   in Loop: Header=BB11_161 Depth=3
	v_mov_b32_e32 v5, s48
	ds_read_b64 v[28:29], v5 offset:24
	s_branch .LBB11_160
.LBB11_177:                             ;   in Loop: Header=BB11_138 Depth=1
	s_or_b64 exec, exec, s[28:29]
.LBB11_178:                             ;   in Loop: Header=BB11_138 Depth=1
	s_and_saveexec_b64 s[28:29], s[0:1]
	s_cbranch_execz .LBB11_137
; %bb.179:                              ;   in Loop: Header=BB11_138 Depth=1
	ds_read_b64 v[6:7], v32
	v_mad_u64_u32 v[8:9], s[0:1], s6, v4, 0
	v_mov_b32_e32 v2, v9
	v_mad_u64_u32 v[4:5], s[0:1], s7, v4, v[2:3]
	v_mov_b32_e32 v9, v4
	v_lshl_add_u64 v[4:5], v[8:9], 3, s[4:5]
	s_waitcnt lgkmcnt(0)
	flat_store_dwordx2 v[4:5], v[6:7]
	s_branch .LBB11_137
.LBB11_180:
	s_endpgm
	.section	.rodata,"a",@progbits
	.p2align	6, 0x0
	.amdhsa_kernel _ZL19rocblas_tpsv_kernelILb0ELi512EPKPKdPKPdEv18rocblas_operation_bbiT1_llT2_lll
		.amdhsa_group_segment_fixed_size 8192
		.amdhsa_private_segment_fixed_size 0
		.amdhsa_kernarg_size 72
		.amdhsa_user_sgpr_count 2
		.amdhsa_user_sgpr_dispatch_ptr 0
		.amdhsa_user_sgpr_queue_ptr 0
		.amdhsa_user_sgpr_kernarg_segment_ptr 1
		.amdhsa_user_sgpr_dispatch_id 0
		.amdhsa_user_sgpr_kernarg_preload_length 0
		.amdhsa_user_sgpr_kernarg_preload_offset 0
		.amdhsa_user_sgpr_private_segment_size 0
		.amdhsa_uses_dynamic_stack 0
		.amdhsa_enable_private_segment 0
		.amdhsa_system_sgpr_workgroup_id_x 1
		.amdhsa_system_sgpr_workgroup_id_y 0
		.amdhsa_system_sgpr_workgroup_id_z 0
		.amdhsa_system_sgpr_workgroup_info 0
		.amdhsa_system_vgpr_workitem_id 0
		.amdhsa_next_free_vgpr 34
		.amdhsa_next_free_sgpr 70
		.amdhsa_accum_offset 36
		.amdhsa_reserve_vcc 1
		.amdhsa_float_round_mode_32 0
		.amdhsa_float_round_mode_16_64 0
		.amdhsa_float_denorm_mode_32 3
		.amdhsa_float_denorm_mode_16_64 3
		.amdhsa_dx10_clamp 1
		.amdhsa_ieee_mode 1
		.amdhsa_fp16_overflow 0
		.amdhsa_tg_split 0
		.amdhsa_exception_fp_ieee_invalid_op 0
		.amdhsa_exception_fp_denorm_src 0
		.amdhsa_exception_fp_ieee_div_zero 0
		.amdhsa_exception_fp_ieee_overflow 0
		.amdhsa_exception_fp_ieee_underflow 0
		.amdhsa_exception_fp_ieee_inexact 0
		.amdhsa_exception_int_div_zero 0
	.end_amdhsa_kernel
	.section	.text._ZL19rocblas_tpsv_kernelILb0ELi512EPKPKdPKPdEv18rocblas_operation_bbiT1_llT2_lll,"axG",@progbits,_ZL19rocblas_tpsv_kernelILb0ELi512EPKPKdPKPdEv18rocblas_operation_bbiT1_llT2_lll,comdat
.Lfunc_end11:
	.size	_ZL19rocblas_tpsv_kernelILb0ELi512EPKPKdPKPdEv18rocblas_operation_bbiT1_llT2_lll, .Lfunc_end11-_ZL19rocblas_tpsv_kernelILb0ELi512EPKPKdPKPdEv18rocblas_operation_bbiT1_llT2_lll
                                        ; -- End function
	.set _ZL19rocblas_tpsv_kernelILb0ELi512EPKPKdPKPdEv18rocblas_operation_bbiT1_llT2_lll.num_vgpr, 34
	.set _ZL19rocblas_tpsv_kernelILb0ELi512EPKPKdPKPdEv18rocblas_operation_bbiT1_llT2_lll.num_agpr, 0
	.set _ZL19rocblas_tpsv_kernelILb0ELi512EPKPKdPKPdEv18rocblas_operation_bbiT1_llT2_lll.numbered_sgpr, 70
	.set _ZL19rocblas_tpsv_kernelILb0ELi512EPKPKdPKPdEv18rocblas_operation_bbiT1_llT2_lll.num_named_barrier, 0
	.set _ZL19rocblas_tpsv_kernelILb0ELi512EPKPKdPKPdEv18rocblas_operation_bbiT1_llT2_lll.private_seg_size, 0
	.set _ZL19rocblas_tpsv_kernelILb0ELi512EPKPKdPKPdEv18rocblas_operation_bbiT1_llT2_lll.uses_vcc, 1
	.set _ZL19rocblas_tpsv_kernelILb0ELi512EPKPKdPKPdEv18rocblas_operation_bbiT1_llT2_lll.uses_flat_scratch, 0
	.set _ZL19rocblas_tpsv_kernelILb0ELi512EPKPKdPKPdEv18rocblas_operation_bbiT1_llT2_lll.has_dyn_sized_stack, 0
	.set _ZL19rocblas_tpsv_kernelILb0ELi512EPKPKdPKPdEv18rocblas_operation_bbiT1_llT2_lll.has_recursion, 0
	.set _ZL19rocblas_tpsv_kernelILb0ELi512EPKPKdPKPdEv18rocblas_operation_bbiT1_llT2_lll.has_indirect_call, 0
	.section	.AMDGPU.csdata,"",@progbits
; Kernel info:
; codeLenInByte = 6852
; TotalNumSgprs: 76
; NumVgprs: 34
; NumAgprs: 0
; TotalNumVgprs: 34
; ScratchSize: 0
; MemoryBound: 0
; FloatMode: 240
; IeeeMode: 1
; LDSByteSize: 8192 bytes/workgroup (compile time only)
; SGPRBlocks: 9
; VGPRBlocks: 4
; NumSGPRsForWavesPerEU: 76
; NumVGPRsForWavesPerEU: 34
; AccumOffset: 36
; Occupancy: 8
; WaveLimiterHint : 1
; COMPUTE_PGM_RSRC2:SCRATCH_EN: 0
; COMPUTE_PGM_RSRC2:USER_SGPR: 2
; COMPUTE_PGM_RSRC2:TRAP_HANDLER: 0
; COMPUTE_PGM_RSRC2:TGID_X_EN: 1
; COMPUTE_PGM_RSRC2:TGID_Y_EN: 0
; COMPUTE_PGM_RSRC2:TGID_Z_EN: 0
; COMPUTE_PGM_RSRC2:TIDIG_COMP_CNT: 0
; COMPUTE_PGM_RSRC3_GFX90A:ACCUM_OFFSET: 8
; COMPUTE_PGM_RSRC3_GFX90A:TG_SPLIT: 0
	.section	.text._ZL19rocblas_tpsv_kernelILb1ELi512EPKPK19rocblas_complex_numIfEPKPS1_Ev18rocblas_operation_bbiT1_llT2_lll,"axG",@progbits,_ZL19rocblas_tpsv_kernelILb1ELi512EPKPK19rocblas_complex_numIfEPKPS1_Ev18rocblas_operation_bbiT1_llT2_lll,comdat
	.globl	_ZL19rocblas_tpsv_kernelILb1ELi512EPKPK19rocblas_complex_numIfEPKPS1_Ev18rocblas_operation_bbiT1_llT2_lll ; -- Begin function _ZL19rocblas_tpsv_kernelILb1ELi512EPKPK19rocblas_complex_numIfEPKPS1_Ev18rocblas_operation_bbiT1_llT2_lll
	.p2align	8
	.type	_ZL19rocblas_tpsv_kernelILb1ELi512EPKPK19rocblas_complex_numIfEPKPS1_Ev18rocblas_operation_bbiT1_llT2_lll,@function
_ZL19rocblas_tpsv_kernelILb1ELi512EPKPK19rocblas_complex_numIfEPKPS1_Ev18rocblas_operation_bbiT1_llT2_lll: ; @_ZL19rocblas_tpsv_kernelILb1ELi512EPKPK19rocblas_complex_numIfEPKPS1_Ev18rocblas_operation_bbiT1_llT2_lll
; %bb.0:
	s_load_dwordx2 s[22:23], s[0:1], 0x0
	s_load_dwordx2 s[12:13], s[0:1], 0x4
	s_load_dwordx4 s[16:19], s[0:1], 0x10
	s_load_dwordx2 s[14:15], s[0:1], 0x28
	s_mov_b32 s3, 0
	s_waitcnt lgkmcnt(0)
	s_bitcmp1_b32 s23, 0
	s_cselect_b64 s[4:5], -1, 0
	s_xor_b64 s[20:21], s[4:5], -1
	s_bitcmp1_b32 s12, 8
	s_cselect_b64 s[8:9], -1, 0
	s_lshl_b64 s[2:3], s[2:3], 3
	s_add_u32 s10, s16, s2
	s_addc_u32 s11, s17, s3
	s_load_dwordx2 s[16:17], s[10:11], 0x0
	s_load_dwordx4 s[4:7], s[0:1], 0x30
	s_lshl_b64 s[18:19], s[18:19], 3
	s_waitcnt lgkmcnt(0)
	s_add_u32 s10, s16, s18
	s_addc_u32 s11, s17, s19
	s_add_u32 s0, s14, s2
	s_addc_u32 s1, s15, s3
	s_load_dwordx2 s[0:1], s[0:1], 0x0
	s_lshl_b64 s[2:3], s[4:5], 3
	s_waitcnt lgkmcnt(0)
	s_add_u32 s4, s0, s2
	s_addc_u32 s5, s1, s3
	s_cmp_gt_i32 s13, 0
	s_cselect_b64 s[14:15], -1, 0
	s_cmpk_lg_i32 s22, 0x6f
	s_mov_b64 s[0:1], -1
	s_cbranch_scc0 .LBB12_92
; %bb.1:
	s_and_b64 vcc, exec, s[20:21]
	s_cbranch_vccz .LBB12_44
; %bb.2:
	s_andn2_b64 vcc, exec, s[14:15]
	s_cbranch_vccnz .LBB12_43
; %bb.3:
	v_lshlrev_b32_e32 v2, 3, v0
	v_or_b32_e32 v1, 0x3000, v2
	v_mov_b32_e32 v3, s19
	v_sub_co_u32_e32 v2, vcc, s18, v2
	s_mov_b64 s[0:1], 0xffc
	s_nop 0
	v_subbrev_co_u32_e32 v3, vcc, 0, v3, vcc
	v_lshl_add_u64 v[2:3], s[16:17], 0, v[2:3]
	s_lshl_b32 s22, s13, 1
	v_lshl_add_u64 v[2:3], v[2:3], 0, s[0:1]
	s_ashr_i32 s1, s13, 31
	s_mov_b32 s0, s13
	s_add_i32 s38, s13, 0xfffffe00
	s_or_b32 s12, s22, 1
	s_lshl_b64 s[0:1], s[0:1], 3
	s_add_u32 s0, s18, s0
	s_addc_u32 s1, s19, s1
	s_add_u32 s0, s16, s0
	v_sub_u32_e32 v4, s13, v0
	s_addc_u32 s1, s17, s1
	v_add_u32_e32 v20, 0x201, v4
	v_add_u32_e32 v4, s13, v0
	s_add_u32 s2, s0, 0xfffff000
	v_add_u32_e32 v21, 0xfffffe00, v4
	s_addc_u32 s3, s1, -1
	v_add_u32_e32 v22, 0xfffffc00, v4
	s_ashr_i32 s33, s22, 31
	s_movk_i32 s40, 0x400
	s_movk_i32 s41, 0x401
	;; [unrolled: 1-line block ×4, first 2 shown]
	s_mov_b64 s[22:23], 0x1000
	s_mov_b64 s[24:25], 0x200
	s_xor_b64 s[26:27], s[8:9], -1
	s_branch .LBB12_5
.LBB12_4:                               ;   in Loop: Header=BB12_5 Depth=1
	s_or_b64 exec, exec, s[30:31]
	s_add_u32 s2, s2, 0xfffff000
	v_add_u32_e32 v20, 0x200, v20
	v_add_u32_e32 v21, 0xfffffe00, v21
	s_addc_u32 s3, s3, -1
	v_add_u32_e32 v22, 0xfffffe00, v22
	s_andn2_b64 vcc, exec, s[28:29]
	s_mov_b32 s38, s44
	s_waitcnt lgkmcnt(0)
	s_barrier
	s_cbranch_vccz .LBB12_43
.LBB12_5:                               ; =>This Loop Header: Depth=1
                                        ;     Child Loop BB12_9 Depth 2
                                        ;     Child Loop BB12_21 Depth 2
                                        ;       Child Loop BB12_24 Depth 3
	v_add_u32_e32 v23, s38, v0
	v_cmp_gt_i32_e32 vcc, 0, v23
	v_cmp_lt_i32_e64 s[0:1], -1, v23
	s_and_saveexec_b64 s[28:29], s[0:1]
	s_cbranch_execz .LBB12_7
; %bb.6:                                ;   in Loop: Header=BB12_5 Depth=1
	v_mad_u64_u32 v[4:5], s[30:31], s6, v23, 0
	v_mov_b32_e32 v6, v5
	v_mad_u64_u32 v[6:7], s[30:31], s7, v23, v[6:7]
	v_mov_b32_e32 v5, v6
	v_lshl_add_u64 v[4:5], v[4:5], 3, s[4:5]
	flat_load_dwordx2 v[4:5], v[4:5]
	s_waitcnt vmcnt(0) lgkmcnt(0)
	ds_write_b64 v1, v[4:5]
.LBB12_7:                               ;   in Loop: Header=BB12_5 Depth=1
	s_or_b64 exec, exec, s[28:29]
	v_mad_u64_u32 v[4:5], s[28:29], v20, v21, 0
	v_ashrrev_i32_e32 v7, 31, v20
	v_mov_b32_e32 v6, v5
	v_mad_u64_u32 v[6:7], s[28:29], v7, v21, v[6:7]
	v_mov_b32_e32 v5, v6
	s_not_b32 s28, s38
	v_sub_u32_e32 v6, s12, v23
	v_max_i32_e32 v14, s28, v0
	v_ashrrev_i32_e32 v9, 31, v6
	v_mad_u64_u32 v[6:7], s[28:29], v6, v23, 0
	v_mov_b32_e32 v8, v7
	v_mad_u64_u32 v[8:9], s[28:29], v9, v23, v[8:9]
	v_mov_b32_e32 v7, v8
	v_lshlrev_b64 v[4:5], 2, v[4:5]
	v_lshlrev_b64 v[6:7], 2, v[6:7]
	v_and_b32_e32 v4, -8, v4
	v_and_b32_e32 v6, -8, v6
	s_or_b64 s[28:29], vcc, s[8:9]
	v_lshl_add_u64 v[4:5], v[2:3], 0, v[4:5]
	v_lshl_add_u64 v[6:7], s[10:11], 0, v[6:7]
	s_movk_i32 s39, 0x1ff
	s_movk_i32 s44, 0x3ff8
	s_xor_b64 s[28:29], s[28:29], -1
	s_xor_b64 s[30:31], vcc, -1
	s_waitcnt lgkmcnt(0)
	s_barrier
	s_branch .LBB12_9
.LBB12_8:                               ;   in Loop: Header=BB12_9 Depth=2
	s_or_b64 exec, exec, s[34:35]
	s_add_i32 s39, s39, -1
	s_add_i32 s44, s44, -8
	s_cmp_eq_u32 s39, -1
	v_lshl_add_u64 v[4:5], v[4:5], 0, -8
	s_cbranch_scc1 .LBB12_17
.LBB12_9:                               ;   Parent Loop BB12_5 Depth=1
                                        ; =>  This Inner Loop Header: Depth=2
	v_cmp_eq_u32_e32 vcc, s39, v0
	s_and_b64 s[36:37], vcc, s[28:29]
	s_and_saveexec_b64 s[34:35], s[36:37]
	s_cbranch_execz .LBB12_15
; %bb.10:                               ;   in Loop: Header=BB12_9 Depth=2
	flat_load_dwordx2 v[10:11], v[6:7]
	ds_read_b64 v[8:9], v1
                                        ; implicit-def: $vgpr12_vgpr13
	s_waitcnt vmcnt(0) lgkmcnt(0)
	v_cmp_ngt_f32_e64 s[36:37], |v10|, |v11|
	s_and_saveexec_b64 s[46:47], s[36:37]
	s_xor_b64 s[36:37], exec, s[46:47]
	s_cbranch_execz .LBB12_12
; %bb.11:                               ;   in Loop: Header=BB12_9 Depth=2
	v_div_scale_f32 v12, s[46:47], -v11, -v11, v10
	v_rcp_f32_e32 v13, v12
	v_div_scale_f32 v15, vcc, v10, -v11, v10
	v_fma_f32 v16, -v12, v13, 1.0
	v_fmac_f32_e32 v13, v16, v13
	v_mul_f32_e32 v16, v15, v13
	v_fma_f32 v17, -v12, v16, v15
	v_fmac_f32_e32 v16, v17, v13
	v_fma_f32 v12, -v12, v16, v15
	v_div_fmas_f32 v12, v12, v13, v16
	v_div_fixup_f32 v12, v12, -v11, v10
	v_fma_f32 v10, v10, v12, -v11
	v_div_scale_f32 v11, s[46:47], v10, v10, 1.0
	v_rcp_f32_e32 v13, v11
	s_nop 0
	v_fma_f32 v15, -v11, v13, 1.0
	v_fmac_f32_e32 v13, v15, v13
	v_div_scale_f32 v15, vcc, 1.0, v10, 1.0
	v_mul_f32_e32 v16, v15, v13
	v_fma_f32 v17, -v11, v16, v15
	v_fmac_f32_e32 v16, v17, v13
	v_fma_f32 v11, -v11, v16, v15
	v_div_fmas_f32 v11, v11, v13, v16
	v_pk_fma_f32 v[16:17], v[12:13], v[8:9], v[8:9] op_sel:[0,0,1] op_sel_hi:[1,1,0]
	v_pk_fma_f32 v[8:9], v[12:13], v[8:9], v[8:9] op_sel:[0,0,1] op_sel_hi:[0,1,0] neg_lo:[0,0,1] neg_hi:[0,0,1]
	v_div_fixup_f32 v10, v11, v10, 1.0
	v_mov_b32_e32 v17, v9
	v_pk_mul_f32 v[12:13], v[10:11], v[16:17] op_sel_hi:[0,1]
                                        ; implicit-def: $vgpr10_vgpr11
                                        ; implicit-def: $vgpr8_vgpr9
.LBB12_12:                              ;   in Loop: Header=BB12_9 Depth=2
	s_andn2_saveexec_b64 s[36:37], s[36:37]
	s_cbranch_execz .LBB12_14
; %bb.13:                               ;   in Loop: Header=BB12_9 Depth=2
	v_div_scale_f32 v12, s[46:47], v10, v10, -v11
	v_rcp_f32_e32 v13, v12
	v_div_scale_f32 v15, vcc, -v11, v10, -v11
	v_fma_f32 v16, -v12, v13, 1.0
	v_fmac_f32_e32 v13, v16, v13
	v_mul_f32_e32 v16, v15, v13
	v_fma_f32 v17, -v12, v16, v15
	v_fmac_f32_e32 v16, v17, v13
	v_fma_f32 v12, -v12, v16, v15
	v_div_fmas_f32 v12, v12, v13, v16
	v_div_fixup_f32 v12, v12, v10, -v11
	v_fma_f32 v10, -v11, v12, v10
	v_div_scale_f32 v11, s[46:47], v10, v10, 1.0
	v_rcp_f32_e32 v13, v11
	s_nop 0
	v_fma_f32 v15, -v11, v13, 1.0
	v_fmac_f32_e32 v13, v15, v13
	v_div_scale_f32 v15, vcc, 1.0, v10, 1.0
	v_mul_f32_e32 v16, v15, v13
	v_fma_f32 v17, -v11, v16, v15
	v_fmac_f32_e32 v16, v17, v13
	v_fma_f32 v11, -v11, v16, v15
	v_div_fmas_f32 v11, v11, v13, v16
	v_pk_fma_f32 v[16:17], v[12:13], v[8:9], v[8:9] op_sel:[0,1,0] op_sel_hi:[1,0,1]
	v_pk_fma_f32 v[8:9], v[12:13], v[8:9], v[8:9] op_sel:[0,1,0] op_sel_hi:[0,0,1] neg_lo:[1,0,0] neg_hi:[1,0,0]
	v_div_fixup_f32 v10, v11, v10, 1.0
	v_mov_b32_e32 v17, v9
	v_pk_mul_f32 v[12:13], v[10:11], v[16:17] op_sel_hi:[0,1]
.LBB12_14:                              ;   in Loop: Header=BB12_9 Depth=2
	s_or_b64 exec, exec, s[36:37]
	ds_write_b64 v1, v[12:13]
.LBB12_15:                              ;   in Loop: Header=BB12_9 Depth=2
	s_or_b64 exec, exec, s[34:35]
	v_cmp_gt_u32_e32 vcc, s39, v14
	s_and_b64 s[36:37], s[30:31], vcc
	s_waitcnt lgkmcnt(0)
	s_barrier
	s_and_saveexec_b64 s[34:35], s[36:37]
	s_cbranch_execz .LBB12_8
; %bb.16:                               ;   in Loop: Header=BB12_9 Depth=2
	v_add_co_u32_e32 v8, vcc, -4, v4
	v_mov_b32_e32 v10, s44
	s_nop 0
	v_addc_co_u32_e32 v9, vcc, -1, v5, vcc
	flat_load_dwordx2 v[8:9], v[8:9]
	ds_read_b64 v[10:11], v10
	ds_read_b64 v[12:13], v1
	s_waitcnt vmcnt(0) lgkmcnt(0)
	v_pk_mul_f32 v[16:17], v[8:9], v[10:11] op_sel:[1,1] op_sel_hi:[1,0]
	s_nop 0
	v_pk_fma_f32 v[18:19], v[8:9], v[10:11], v[16:17]
	v_pk_fma_f32 v[8:9], v[8:9], v[10:11], v[16:17] op_sel_hi:[0,1,1] neg_lo:[0,0,1] neg_hi:[0,0,1]
	v_mov_b32_e32 v19, v9
	v_pk_add_f32 v[8:9], v[12:13], v[18:19] neg_lo:[0,1] neg_hi:[0,1]
	ds_write_b64 v1, v[8:9]
	s_branch .LBB12_8
.LBB12_17:                              ;   in Loop: Header=BB12_5 Depth=1
	s_add_i32 s44, s38, 0xfffffe00
	s_cmp_lt_i32 s38, 1
	s_cselect_b64 s[28:29], -1, 0
	s_and_b64 vcc, exec, s[28:29]
	s_waitcnt lgkmcnt(0)
	s_barrier
	s_cbranch_vccnz .LBB12_41
; %bb.18:                               ;   in Loop: Header=BB12_5 Depth=1
	v_ashrrev_i32_e32 v7, 31, v22
	v_mad_i64_i32 v[4:5], s[30:31], v22, -8, s[2:3]
	v_mov_b32_e32 v8, s33
	v_sub_co_u32_e32 v6, vcc, s12, v22
	s_mov_b64 s[30:31], 0
	s_nop 0
	v_subb_co_u32_e32 v7, vcc, v8, v7, vcc
	v_mov_b32_e32 v24, v22
	v_mov_b32_e32 v25, v0
	s_mov_b32 s45, s44
                                        ; implicit-def: $sgpr34_sgpr35
	s_branch .LBB12_21
.LBB12_19:                              ;   in Loop: Header=BB12_21 Depth=2
	v_mad_u64_u32 v[10:11], s[38:39], s6, v26, 0
	v_mov_b32_e32 v12, v11
	v_mad_u64_u32 v[12:13], s[38:39], s7, v26, v[12:13]
	v_mov_b32_e32 v11, v12
	v_lshl_add_u64 v[10:11], v[10:11], 3, s[4:5]
	flat_load_dwordx2 v[12:13], v[10:11]
	s_add_i32 s46, s45, 0xfffffe00
	s_cmp_lt_i32 s45, 1
	s_cselect_b64 s[38:39], -1, 0
	s_andn2_b64 s[34:35], s[34:35], exec
	s_and_b64 s[38:39], s[38:39], exec
	v_add_u32_e32 v25, 0xfffffe00, v25
	v_lshl_add_u64 v[4:5], v[4:5], 0, s[22:23]
	v_lshl_add_u64 v[6:7], v[6:7], 0, s[24:25]
	v_add_u32_e32 v24, 0xfffffe00, v24
	s_or_b64 s[34:35], s[34:35], s[38:39]
	s_mov_b32 s45, s46
	s_waitcnt vmcnt(0) lgkmcnt(0)
	v_pk_add_f32 v[8:9], v[12:13], v[8:9] neg_lo:[0,1] neg_hi:[0,1]
	flat_store_dwordx2 v[10:11], v[8:9]
.LBB12_20:                              ;   in Loop: Header=BB12_21 Depth=2
	s_or_b64 exec, exec, s[36:37]
	s_and_b64 s[36:37], exec, s[34:35]
	s_or_b64 s[30:31], s[36:37], s[30:31]
	s_andn2_b64 exec, exec, s[30:31]
	s_cbranch_execz .LBB12_40
.LBB12_21:                              ;   Parent Loop BB12_5 Depth=1
                                        ; =>  This Loop Header: Depth=2
                                        ;       Child Loop BB12_24 Depth 3
	v_add_u32_e32 v26, s45, v0
	v_cmp_lt_i32_e32 vcc, -1, v26
	s_or_b64 s[34:35], s[34:35], exec
	s_and_saveexec_b64 s[36:37], vcc
	s_cbranch_execz .LBB12_20
; %bb.22:                               ;   in Loop: Header=BB12_21 Depth=2
	v_mad_u64_u32 v[8:9], s[38:39], v6, v24, 0
	v_mov_b32_e32 v10, v9
	v_mad_u64_u32 v[10:11], s[38:39], v7, v24, v[10:11]
	v_mov_b32_e32 v9, v10
	v_lshlrev_b64 v[8:9], 2, v[8:9]
	v_and_b32_e32 v8, -8, v8
	v_lshl_add_u64 v[10:11], v[4:5], 0, v[8:9]
	v_mov_b32_e32 v8, 0
	s_movk_i32 s46, 0x3000
	s_movk_i32 s47, 0x200
	v_mov_b32_e32 v9, v8
	s_branch .LBB12_24
.LBB12_23:                              ;   in Loop: Header=BB12_24 Depth=3
	s_or_b64 exec, exec, s[38:39]
	s_waitcnt lgkmcnt(0)
	v_pk_add_f32 v[8:9], v[8:9], v[12:13]
	s_add_i32 s46, s46, 32
	v_pk_add_f32 v[8:9], v[8:9], v[14:15]
	s_add_i32 s47, s47, -4
	v_pk_add_f32 v[8:9], v[8:9], v[16:17]
	s_cmp_eq_u32 s47, 0
	v_pk_add_f32 v[8:9], v[8:9], v[18:19]
	v_lshl_add_u64 v[10:11], v[10:11], 0, 32
	s_cbranch_scc1 .LBB12_19
.LBB12_24:                              ;   Parent Loop BB12_5 Depth=1
                                        ;     Parent Loop BB12_21 Depth=2
                                        ; =>    This Inner Loop Header: Depth=3
	v_add_u32_e32 v18, s47, v25
	v_cmp_ne_u32_e32 vcc, s40, v18
	s_or_b64 s[38:39], s[26:27], vcc
                                        ; implicit-def: $vgpr13
	s_and_saveexec_b64 s[48:49], s[38:39]
	s_xor_b64 s[38:39], exec, s[48:49]
	s_cbranch_execz .LBB12_26
; %bb.25:                               ;   in Loop: Header=BB12_24 Depth=3
	flat_load_dwordx2 v[12:13], v[10:11]
	v_mov_b32_e32 v14, s46
	ds_read_b64 v[14:15], v14
	s_waitcnt vmcnt(0) lgkmcnt(0)
	v_pk_mul_f32 v[28:29], v[12:13], v[14:15] op_sel:[1,1] op_sel_hi:[1,0]
	v_pk_mul_f32 v[16:17], v[12:13], v[14:15]
	v_pk_fma_f32 v[12:13], v[12:13], v[14:15], v[28:29] op_sel_hi:[0,1,1] neg_lo:[0,0,1] neg_hi:[0,0,1]
	v_add_f32_e32 v12, v16, v28
.LBB12_26:                              ;   in Loop: Header=BB12_24 Depth=3
	s_andn2_saveexec_b64 s[38:39], s[38:39]
; %bb.27:                               ;   in Loop: Header=BB12_24 Depth=3
	v_mov_b32_e32 v12, s46
	ds_read_b64 v[12:13], v12
; %bb.28:                               ;   in Loop: Header=BB12_24 Depth=3
	s_or_b64 exec, exec, s[38:39]
	v_cmp_ne_u32_e32 vcc, s41, v18
	s_or_b64 s[38:39], s[26:27], vcc
                                        ; implicit-def: $vgpr15
	s_and_saveexec_b64 s[48:49], s[38:39]
	s_xor_b64 s[38:39], exec, s[48:49]
	s_cbranch_execz .LBB12_30
; %bb.29:                               ;   in Loop: Header=BB12_24 Depth=3
	flat_load_dwordx2 v[14:15], v[10:11] offset:8
	v_mov_b32_e32 v16, s46
	ds_read_b64 v[16:17], v16 offset:8
	s_waitcnt vmcnt(0) lgkmcnt(0)
	v_pk_mul_f32 v[30:31], v[14:15], v[16:17] op_sel:[1,1] op_sel_hi:[1,0]
	v_pk_mul_f32 v[28:29], v[14:15], v[16:17]
	v_pk_fma_f32 v[14:15], v[14:15], v[16:17], v[30:31] op_sel_hi:[0,1,1] neg_lo:[0,0,1] neg_hi:[0,0,1]
	v_add_f32_e32 v14, v28, v30
.LBB12_30:                              ;   in Loop: Header=BB12_24 Depth=3
	s_andn2_saveexec_b64 s[38:39], s[38:39]
; %bb.31:                               ;   in Loop: Header=BB12_24 Depth=3
	v_mov_b32_e32 v14, s46
	ds_read_b64 v[14:15], v14 offset:8
; %bb.32:                               ;   in Loop: Header=BB12_24 Depth=3
	s_or_b64 exec, exec, s[38:39]
	v_cmp_ne_u32_e32 vcc, s42, v18
	s_or_b64 s[38:39], s[26:27], vcc
                                        ; implicit-def: $vgpr17
	s_and_saveexec_b64 s[48:49], s[38:39]
	s_xor_b64 s[38:39], exec, s[48:49]
	s_cbranch_execz .LBB12_34
; %bb.33:                               ;   in Loop: Header=BB12_24 Depth=3
	flat_load_dwordx2 v[16:17], v[10:11] offset:16
	v_mov_b32_e32 v19, s46
	ds_read_b64 v[28:29], v19 offset:16
	s_waitcnt vmcnt(0) lgkmcnt(0)
	v_pk_mul_f32 v[32:33], v[16:17], v[28:29] op_sel:[1,1] op_sel_hi:[1,0]
	v_pk_mul_f32 v[30:31], v[16:17], v[28:29]
	v_pk_fma_f32 v[16:17], v[16:17], v[28:29], v[32:33] op_sel_hi:[0,1,1] neg_lo:[0,0,1] neg_hi:[0,0,1]
	v_add_f32_e32 v16, v30, v32
.LBB12_34:                              ;   in Loop: Header=BB12_24 Depth=3
	s_andn2_saveexec_b64 s[38:39], s[38:39]
; %bb.35:                               ;   in Loop: Header=BB12_24 Depth=3
	v_mov_b32_e32 v16, s46
	ds_read_b64 v[16:17], v16 offset:16
; %bb.36:                               ;   in Loop: Header=BB12_24 Depth=3
	s_or_b64 exec, exec, s[38:39]
	v_cmp_ne_u32_e32 vcc, s43, v18
	s_or_b64 s[38:39], s[26:27], vcc
                                        ; implicit-def: $vgpr19
	s_and_saveexec_b64 s[48:49], s[38:39]
	s_xor_b64 s[38:39], exec, s[48:49]
	s_cbranch_execz .LBB12_38
; %bb.37:                               ;   in Loop: Header=BB12_24 Depth=3
	flat_load_dwordx2 v[18:19], v[10:11] offset:24
	v_mov_b32_e32 v27, s46
	ds_read_b64 v[28:29], v27 offset:24
	s_waitcnt vmcnt(0) lgkmcnt(0)
	v_pk_mul_f32 v[32:33], v[18:19], v[28:29] op_sel:[1,1] op_sel_hi:[1,0]
	v_pk_mul_f32 v[30:31], v[18:19], v[28:29]
	v_pk_fma_f32 v[18:19], v[18:19], v[28:29], v[32:33] op_sel_hi:[0,1,1] neg_lo:[0,0,1] neg_hi:[0,0,1]
	v_add_f32_e32 v18, v30, v32
.LBB12_38:                              ;   in Loop: Header=BB12_24 Depth=3
	s_andn2_saveexec_b64 s[38:39], s[38:39]
	s_cbranch_execz .LBB12_23
; %bb.39:                               ;   in Loop: Header=BB12_24 Depth=3
	v_mov_b32_e32 v18, s46
	ds_read_b64 v[18:19], v18 offset:24
	s_branch .LBB12_23
.LBB12_40:                              ;   in Loop: Header=BB12_5 Depth=1
	s_or_b64 exec, exec, s[30:31]
.LBB12_41:                              ;   in Loop: Header=BB12_5 Depth=1
	s_and_saveexec_b64 s[30:31], s[0:1]
	s_cbranch_execz .LBB12_4
; %bb.42:                               ;   in Loop: Header=BB12_5 Depth=1
	v_mad_u64_u32 v[4:5], s[0:1], s6, v23, 0
	ds_read_b64 v[8:9], v1
	v_mov_b32_e32 v6, v5
	v_mad_u64_u32 v[6:7], s[0:1], s7, v23, v[6:7]
	v_mov_b32_e32 v5, v6
	v_lshl_add_u64 v[4:5], v[4:5], 3, s[4:5]
	s_waitcnt lgkmcnt(0)
	flat_store_dwordx2 v[4:5], v[8:9]
	s_branch .LBB12_4
.LBB12_43:
	s_mov_b64 s[0:1], 0
.LBB12_44:
	s_andn2_b64 vcc, exec, s[0:1]
	s_cbranch_vccnz .LBB12_91
; %bb.45:
	s_andn2_b64 vcc, exec, s[14:15]
	s_cbranch_vccnz .LBB12_91
; %bb.46:
	v_mov_b32_e32 v1, 0x1000
	v_mov_b32_e32 v2, 0
	v_lshl_or_b32 v20, v0, 3, v1
	v_mov_b32_e32 v1, v2
	v_mad_u64_u32 v[4:5], s[0:1], v0, v0, v[0:1]
	v_lshlrev_b32_e32 v6, 10, v0
	v_mov_b32_e32 v7, v2
	s_mov_b64 s[0:1], 0x40200
	v_lshl_add_u64 v[8:9], v[6:7], 0, s[0:1]
	v_or_b32_e32 v6, 0x200, v0
	s_mov_b32 s12, 0
	v_add_u32_e32 v1, 0x201, v0
	s_xor_b64 s[22:23], s[8:9], -1
	s_mov_b64 s[24:25], 0x200
	s_mov_b64 s[26:27], 0x80000
	;; [unrolled: 1-line block ×3, first 2 shown]
	s_branch .LBB12_48
.LBB12_47:                              ;   in Loop: Header=BB12_48 Depth=1
	s_or_b64 exec, exec, s[30:31]
	s_add_u32 s28, s28, 0x1000
	v_lshl_add_u64 v[10:11], v[8:9], 0, s[26:27]
	s_addc_u32 s29, s29, 0
	v_lshl_add_u64 v[4:5], v[4:5], 0, v[8:9]
	v_lshl_add_u64 v[6:7], v[6:7], 0, s[24:25]
	v_add_u32_e32 v1, 0x200, v1
	s_and_b64 vcc, exec, s[2:3]
	v_mov_b64_e32 v[8:9], v[10:11]
	s_mov_b32 s12, s33
	s_waitcnt lgkmcnt(0)
	s_barrier
	s_cbranch_vccnz .LBB12_91
.LBB12_48:                              ; =>This Loop Header: Depth=1
                                        ;     Child Loop BB12_52 Depth 2
                                        ;     Child Loop BB12_65 Depth 2
                                        ;       Child Loop BB12_68 Depth 3
	v_add_u32_e32 v21, s12, v0
	v_cmp_le_i32_e32 vcc, s13, v21
	v_cmp_gt_i32_e64 s[0:1], s13, v21
	s_and_saveexec_b64 s[2:3], s[0:1]
	s_cbranch_execz .LBB12_50
; %bb.49:                               ;   in Loop: Header=BB12_48 Depth=1
	v_mad_u64_u32 v[10:11], s[30:31], s6, v21, 0
	v_mov_b32_e32 v12, v11
	v_mad_u64_u32 v[12:13], s[30:31], s7, v21, v[12:13]
	v_mov_b32_e32 v11, v12
	v_lshl_add_u64 v[10:11], v[10:11], 3, s[4:5]
	flat_load_dwordx2 v[10:11], v[10:11]
	s_waitcnt vmcnt(0) lgkmcnt(0)
	ds_write_b64 v20, v[10:11]
.LBB12_50:                              ;   in Loop: Header=BB12_48 Depth=1
	s_or_b64 exec, exec, s[2:3]
	v_or_b32_e32 v12, s12, v0
	v_add_u32_e32 v3, 1, v12
	v_mad_u64_u32 v[14:15], s[30:31], v3, v12, 0
	v_lshlrev_b64 v[14:15], 2, v[14:15]
	v_lshlrev_b64 v[10:11], 2, v[4:5]
	v_and_b32_e32 v14, -8, v14
	v_and_b32_e32 v10, -8, v10
	v_mov_b32_e32 v13, v2
	v_lshl_add_u64 v[14:15], s[10:11], 0, v[14:15]
	v_lshl_add_u64 v[10:11], s[28:29], 0, v[10:11]
	v_cmp_le_i32_e64 s[2:3], s13, v12
	v_lshl_add_u64 v[12:13], v[12:13], 3, v[14:15]
	s_mov_b32 s33, 0
	s_movk_i32 s38, 0x1000
	s_xor_b64 s[30:31], vcc, -1
	s_waitcnt lgkmcnt(0)
	s_barrier
	s_branch .LBB12_52
.LBB12_51:                              ;   in Loop: Header=BB12_52 Depth=2
	s_or_b64 exec, exec, s[34:35]
	s_add_i32 s33, s33, 1
	s_add_i32 s38, s38, 8
	s_cmpk_eq_i32 s33, 0x200
	v_lshl_add_u64 v[10:11], v[10:11], 0, 8
	s_cbranch_scc1 .LBB12_61
.LBB12_52:                              ;   Parent Loop BB12_48 Depth=1
                                        ; =>  This Inner Loop Header: Depth=2
	v_cmp_ne_u32_e32 vcc, s33, v0
	s_or_b64 s[34:35], s[8:9], vcc
	s_nor_b64 s[36:37], s[34:35], s[2:3]
	s_and_saveexec_b64 s[34:35], s[36:37]
	s_cbranch_execz .LBB12_58
; %bb.53:                               ;   in Loop: Header=BB12_52 Depth=2
	flat_load_dwordx2 v[16:17], v[12:13]
	ds_read_b64 v[14:15], v20
                                        ; implicit-def: $vgpr18_vgpr19
	s_waitcnt vmcnt(0) lgkmcnt(0)
	v_cmp_ngt_f32_e64 s[36:37], |v16|, |v17|
	s_and_saveexec_b64 s[40:41], s[36:37]
	s_xor_b64 s[36:37], exec, s[40:41]
	s_cbranch_execz .LBB12_55
; %bb.54:                               ;   in Loop: Header=BB12_52 Depth=2
	v_div_scale_f32 v3, s[40:41], -v17, -v17, v16
	v_rcp_f32_e32 v18, v3
	v_div_scale_f32 v19, vcc, v16, -v17, v16
	v_fma_f32 v22, -v3, v18, 1.0
	v_fmac_f32_e32 v18, v22, v18
	v_mul_f32_e32 v22, v19, v18
	v_fma_f32 v23, -v3, v22, v19
	v_fmac_f32_e32 v22, v23, v18
	v_fma_f32 v3, -v3, v22, v19
	v_div_fmas_f32 v3, v3, v18, v22
	v_div_fixup_f32 v18, v3, -v17, v16
	v_fma_f32 v3, v16, v18, -v17
	v_div_scale_f32 v16, s[40:41], v3, v3, 1.0
	v_rcp_f32_e32 v17, v16
	s_nop 0
	v_fma_f32 v19, -v16, v17, 1.0
	v_fmac_f32_e32 v17, v19, v17
	v_div_scale_f32 v19, vcc, 1.0, v3, 1.0
	v_mul_f32_e32 v22, v19, v17
	v_fma_f32 v23, -v16, v22, v19
	v_fmac_f32_e32 v22, v23, v17
	v_fma_f32 v16, -v16, v22, v19
	v_div_fmas_f32 v16, v16, v17, v22
	v_pk_fma_f32 v[22:23], v[18:19], v[14:15], v[14:15] op_sel:[0,0,1] op_sel_hi:[1,1,0]
	v_pk_fma_f32 v[14:15], v[18:19], v[14:15], v[14:15] op_sel:[0,0,1] op_sel_hi:[0,1,0] neg_lo:[0,0,1] neg_hi:[0,0,1]
	v_div_fixup_f32 v16, v16, v3, 1.0
	v_mov_b32_e32 v23, v15
	v_pk_mul_f32 v[18:19], v[16:17], v[22:23] op_sel_hi:[0,1]
                                        ; implicit-def: $vgpr16_vgpr17
                                        ; implicit-def: $vgpr14_vgpr15
.LBB12_55:                              ;   in Loop: Header=BB12_52 Depth=2
	s_andn2_saveexec_b64 s[36:37], s[36:37]
	s_cbranch_execz .LBB12_57
; %bb.56:                               ;   in Loop: Header=BB12_52 Depth=2
	v_div_scale_f32 v3, s[40:41], v16, v16, -v17
	v_rcp_f32_e32 v18, v3
	v_div_scale_f32 v19, vcc, -v17, v16, -v17
	v_fma_f32 v22, -v3, v18, 1.0
	v_fmac_f32_e32 v18, v22, v18
	v_mul_f32_e32 v22, v19, v18
	v_fma_f32 v23, -v3, v22, v19
	v_fmac_f32_e32 v22, v23, v18
	v_fma_f32 v3, -v3, v22, v19
	v_div_fmas_f32 v3, v3, v18, v22
	v_div_fixup_f32 v18, v3, v16, -v17
	v_fma_f32 v3, -v17, v18, v16
	v_div_scale_f32 v16, s[40:41], v3, v3, 1.0
	v_rcp_f32_e32 v17, v16
	s_nop 0
	v_fma_f32 v19, -v16, v17, 1.0
	v_fmac_f32_e32 v17, v19, v17
	v_div_scale_f32 v19, vcc, 1.0, v3, 1.0
	v_mul_f32_e32 v22, v19, v17
	v_fma_f32 v23, -v16, v22, v19
	v_fmac_f32_e32 v22, v23, v17
	v_fma_f32 v16, -v16, v22, v19
	v_div_fmas_f32 v16, v16, v17, v22
	v_pk_fma_f32 v[22:23], v[18:19], v[14:15], v[14:15] op_sel:[0,1,0] op_sel_hi:[1,0,1]
	v_pk_fma_f32 v[14:15], v[18:19], v[14:15], v[14:15] op_sel:[0,1,0] op_sel_hi:[0,0,1] neg_lo:[1,0,0] neg_hi:[1,0,0]
	v_div_fixup_f32 v16, v16, v3, 1.0
	v_mov_b32_e32 v23, v15
	v_pk_mul_f32 v[18:19], v[16:17], v[22:23] op_sel_hi:[0,1]
.LBB12_57:                              ;   in Loop: Header=BB12_52 Depth=2
	s_or_b64 exec, exec, s[36:37]
	ds_write_b64 v20, v[18:19]
.LBB12_58:                              ;   in Loop: Header=BB12_52 Depth=2
	s_or_b64 exec, exec, s[34:35]
	v_cmp_lt_u32_e32 vcc, s33, v0
	s_waitcnt lgkmcnt(0)
	s_barrier
	s_and_saveexec_b64 s[34:35], vcc
	s_cbranch_execz .LBB12_51
; %bb.59:                               ;   in Loop: Header=BB12_52 Depth=2
	s_add_i32 s36, s12, s33
	s_cmp_lt_i32 s36, s13
	s_cselect_b64 s[36:37], -1, 0
	s_and_b64 s[36:37], s[30:31], s[36:37]
	s_and_b64 exec, exec, s[36:37]
	s_cbranch_execz .LBB12_51
; %bb.60:                               ;   in Loop: Header=BB12_52 Depth=2
	flat_load_dwordx2 v[14:15], v[10:11]
	v_mov_b32_e32 v3, s38
	ds_read_b64 v[16:17], v3
	ds_read_b64 v[18:19], v20
	s_waitcnt vmcnt(0) lgkmcnt(0)
	v_pk_mul_f32 v[22:23], v[14:15], v[16:17] op_sel:[1,1] op_sel_hi:[1,0]
	s_nop 0
	v_pk_fma_f32 v[24:25], v[14:15], v[16:17], v[22:23]
	v_pk_fma_f32 v[14:15], v[14:15], v[16:17], v[22:23] op_sel_hi:[0,1,1] neg_lo:[0,0,1] neg_hi:[0,0,1]
	v_mov_b32_e32 v25, v15
	v_pk_add_f32 v[14:15], v[18:19], v[24:25] neg_lo:[0,1] neg_hi:[0,1]
	ds_write_b64 v20, v[14:15]
	s_branch .LBB12_51
.LBB12_61:                              ;   in Loop: Header=BB12_48 Depth=1
	s_add_i32 s33, s12, 0x200
	s_cmp_ge_i32 s33, s13
	s_cselect_b64 s[2:3], -1, 0
	s_and_b64 vcc, exec, s[2:3]
	s_waitcnt lgkmcnt(0)
	s_barrier
	s_cbranch_vccnz .LBB12_89
; %bb.62:                               ;   in Loop: Header=BB12_48 Depth=1
	s_mov_b64 s[30:31], 0
	v_mov_b32_e32 v16, v1
	v_mov_b64_e32 v[10:11], v[6:7]
	v_mov_b32_e32 v17, v0
	s_mov_b32 s40, s33
                                        ; implicit-def: $sgpr34_sgpr35
	s_branch .LBB12_65
.LBB12_63:                              ;   in Loop: Header=BB12_65 Depth=2
	v_mad_u64_u32 v[14:15], s[38:39], s6, v18, 0
	v_mov_b32_e32 v22, v15
	v_mad_u64_u32 v[18:19], s[38:39], s7, v18, v[22:23]
	v_mov_b32_e32 v15, v18
	v_lshl_add_u64 v[14:15], v[14:15], 3, s[4:5]
	flat_load_dwordx2 v[18:19], v[14:15]
	s_addk_i32 s40, 0x200
	s_cmp_ge_i32 s40, s13
	s_cselect_b64 s[38:39], -1, 0
	s_andn2_b64 s[34:35], s[34:35], exec
	s_and_b64 s[38:39], s[38:39], exec
	v_lshl_add_u64 v[10:11], v[10:11], 0, s[24:25]
	v_add_u32_e32 v16, 0x200, v16
	s_or_b64 s[34:35], s[34:35], s[38:39]
	s_waitcnt vmcnt(0) lgkmcnt(0)
	v_pk_add_f32 v[12:13], v[18:19], v[12:13] neg_lo:[0,1] neg_hi:[0,1]
	flat_store_dwordx2 v[14:15], v[12:13]
.LBB12_64:                              ;   in Loop: Header=BB12_65 Depth=2
	s_or_b64 exec, exec, s[36:37]
	s_and_b64 s[36:37], exec, s[34:35]
	s_or_b64 s[30:31], s[36:37], s[30:31]
	s_andn2_b64 exec, exec, s[30:31]
	s_cbranch_execz .LBB12_88
.LBB12_65:                              ;   Parent Loop BB12_48 Depth=1
                                        ; =>  This Loop Header: Depth=2
                                        ;       Child Loop BB12_68 Depth 3
	v_add_u32_e32 v18, s40, v0
	v_cmp_gt_i32_e32 vcc, s13, v18
	s_or_b64 s[34:35], s[34:35], exec
	s_and_saveexec_b64 s[36:37], vcc
	s_cbranch_execz .LBB12_64
; %bb.66:                               ;   in Loop: Header=BB12_65 Depth=2
	v_mad_u64_u32 v[12:13], s[38:39], v10, v16, 0
	v_mov_b32_e32 v14, v13
	v_mad_u64_u32 v[14:15], s[38:39], v11, v16, v[14:15]
	v_mov_b32_e32 v13, v14
	v_lshlrev_b64 v[12:13], 2, v[12:13]
	v_and_b32_e32 v12, -8, v12
	v_mov_b32_e32 v3, v2
	v_lshl_add_u64 v[14:15], s[28:29], 0, v[12:13]
	v_add_u32_e32 v19, 0x1fd, v17
	v_add_u32_e32 v22, 0x1fe, v17
	v_add_u32_e32 v23, 0x1ff, v17
	v_add_u32_e32 v17, 0x200, v17
	s_mov_b32 s41, 0
	s_movk_i32 s42, 0x1000
	v_mov_b64_e32 v[12:13], v[2:3]
	s_branch .LBB12_68
.LBB12_67:                              ;   in Loop: Header=BB12_68 Depth=3
	s_or_b64 exec, exec, s[38:39]
	s_add_i32 s41, s41, 4
	s_add_i32 s42, s42, 32
	s_cmpk_eq_i32 s41, 0x200
	v_lshl_add_u64 v[14:15], v[14:15], 0, 32
	s_cbranch_scc1 .LBB12_63
.LBB12_68:                              ;   Parent Loop BB12_48 Depth=1
                                        ;     Parent Loop BB12_65 Depth=2
                                        ; =>    This Inner Loop Header: Depth=3
	v_cmp_ne_u32_e32 vcc, s41, v17
	s_add_i32 s43, s12, s41
	s_or_b64 s[38:39], s[22:23], vcc
	s_and_saveexec_b64 s[44:45], s[38:39]
	s_xor_b64 s[38:39], exec, s[44:45]
	s_cbranch_execz .LBB12_71
; %bb.69:                               ;   in Loop: Header=BB12_68 Depth=3
	s_cmp_ge_i32 s43, s13
	s_cbranch_scc1 .LBB12_71
; %bb.70:                               ;   in Loop: Header=BB12_68 Depth=3
	flat_load_dwordx2 v[24:25], v[14:15]
	v_mov_b32_e32 v3, s42
	ds_read_b64 v[26:27], v3
	s_waitcnt vmcnt(0) lgkmcnt(0)
	v_pk_mul_f32 v[28:29], v[24:25], v[26:27] op_sel:[1,1] op_sel_hi:[1,0]
	s_nop 0
	v_pk_fma_f32 v[30:31], v[24:25], v[26:27], v[28:29]
	v_pk_fma_f32 v[24:25], v[24:25], v[26:27], v[28:29] op_sel_hi:[0,1,1] neg_lo:[0,0,1] neg_hi:[0,0,1]
	v_mov_b32_e32 v31, v25
	v_pk_add_f32 v[12:13], v[12:13], v[30:31]
.LBB12_71:                              ;   in Loop: Header=BB12_68 Depth=3
	s_andn2_saveexec_b64 s[38:39], s[38:39]
	s_cbranch_execz .LBB12_73
; %bb.72:                               ;   in Loop: Header=BB12_68 Depth=3
	v_mov_b32_e32 v3, s42
	ds_read_b64 v[24:25], v3
	s_waitcnt lgkmcnt(0)
	v_pk_add_f32 v[12:13], v[12:13], v[24:25]
.LBB12_73:                              ;   in Loop: Header=BB12_68 Depth=3
	s_or_b64 exec, exec, s[38:39]
	v_cmp_ne_u32_e32 vcc, s41, v23
	s_or_b64 s[38:39], s[22:23], vcc
	s_and_saveexec_b64 s[44:45], s[38:39]
	s_xor_b64 s[38:39], exec, s[44:45]
	s_cbranch_execz .LBB12_76
; %bb.74:                               ;   in Loop: Header=BB12_68 Depth=3
	s_add_i32 s44, s43, 1
	s_cmp_ge_i32 s44, s13
	s_cbranch_scc1 .LBB12_76
; %bb.75:                               ;   in Loop: Header=BB12_68 Depth=3
	flat_load_dwordx2 v[24:25], v[14:15] offset:8
	v_mov_b32_e32 v3, s42
	ds_read_b64 v[26:27], v3 offset:8
	s_waitcnt vmcnt(0) lgkmcnt(0)
	v_pk_mul_f32 v[28:29], v[24:25], v[26:27] op_sel:[1,1] op_sel_hi:[1,0]
	s_nop 0
	v_pk_fma_f32 v[30:31], v[24:25], v[26:27], v[28:29]
	v_pk_fma_f32 v[24:25], v[24:25], v[26:27], v[28:29] op_sel_hi:[0,1,1] neg_lo:[0,0,1] neg_hi:[0,0,1]
	v_mov_b32_e32 v31, v25
	v_pk_add_f32 v[12:13], v[12:13], v[30:31]
.LBB12_76:                              ;   in Loop: Header=BB12_68 Depth=3
	s_andn2_saveexec_b64 s[38:39], s[38:39]
	s_cbranch_execz .LBB12_78
; %bb.77:                               ;   in Loop: Header=BB12_68 Depth=3
	v_mov_b32_e32 v3, s42
	ds_read_b64 v[24:25], v3 offset:8
	s_waitcnt lgkmcnt(0)
	v_pk_add_f32 v[12:13], v[12:13], v[24:25]
.LBB12_78:                              ;   in Loop: Header=BB12_68 Depth=3
	s_or_b64 exec, exec, s[38:39]
	v_cmp_ne_u32_e32 vcc, s41, v22
	s_or_b64 s[38:39], s[22:23], vcc
	s_and_saveexec_b64 s[44:45], s[38:39]
	s_xor_b64 s[38:39], exec, s[44:45]
	s_cbranch_execz .LBB12_81
; %bb.79:                               ;   in Loop: Header=BB12_68 Depth=3
	s_add_i32 s44, s43, 2
	s_cmp_ge_i32 s44, s13
	s_cbranch_scc1 .LBB12_81
; %bb.80:                               ;   in Loop: Header=BB12_68 Depth=3
	flat_load_dwordx2 v[24:25], v[14:15] offset:16
	v_mov_b32_e32 v3, s42
	ds_read_b64 v[26:27], v3 offset:16
	s_waitcnt vmcnt(0) lgkmcnt(0)
	v_pk_mul_f32 v[28:29], v[24:25], v[26:27] op_sel:[1,1] op_sel_hi:[1,0]
	s_nop 0
	v_pk_fma_f32 v[30:31], v[24:25], v[26:27], v[28:29]
	v_pk_fma_f32 v[24:25], v[24:25], v[26:27], v[28:29] op_sel_hi:[0,1,1] neg_lo:[0,0,1] neg_hi:[0,0,1]
	v_mov_b32_e32 v31, v25
	v_pk_add_f32 v[12:13], v[12:13], v[30:31]
.LBB12_81:                              ;   in Loop: Header=BB12_68 Depth=3
	s_andn2_saveexec_b64 s[38:39], s[38:39]
	s_cbranch_execz .LBB12_83
; %bb.82:                               ;   in Loop: Header=BB12_68 Depth=3
	v_mov_b32_e32 v3, s42
	ds_read_b64 v[24:25], v3 offset:16
	s_waitcnt lgkmcnt(0)
	v_pk_add_f32 v[12:13], v[12:13], v[24:25]
.LBB12_83:                              ;   in Loop: Header=BB12_68 Depth=3
	s_or_b64 exec, exec, s[38:39]
	v_cmp_ne_u32_e32 vcc, s41, v19
	s_or_b64 s[38:39], s[22:23], vcc
	s_and_saveexec_b64 s[44:45], s[38:39]
	s_xor_b64 s[38:39], exec, s[44:45]
	s_cbranch_execz .LBB12_86
; %bb.84:                               ;   in Loop: Header=BB12_68 Depth=3
	s_add_i32 s43, s43, 3
	s_cmp_ge_i32 s43, s13
	s_cbranch_scc1 .LBB12_86
; %bb.85:                               ;   in Loop: Header=BB12_68 Depth=3
	flat_load_dwordx2 v[24:25], v[14:15] offset:24
	v_mov_b32_e32 v3, s42
	ds_read_b64 v[26:27], v3 offset:24
	s_waitcnt vmcnt(0) lgkmcnt(0)
	v_pk_mul_f32 v[28:29], v[24:25], v[26:27] op_sel:[1,1] op_sel_hi:[1,0]
	s_nop 0
	v_pk_fma_f32 v[30:31], v[24:25], v[26:27], v[28:29]
	v_pk_fma_f32 v[24:25], v[24:25], v[26:27], v[28:29] op_sel_hi:[0,1,1] neg_lo:[0,0,1] neg_hi:[0,0,1]
	v_mov_b32_e32 v31, v25
	v_pk_add_f32 v[12:13], v[12:13], v[30:31]
.LBB12_86:                              ;   in Loop: Header=BB12_68 Depth=3
	s_andn2_saveexec_b64 s[38:39], s[38:39]
	s_cbranch_execz .LBB12_67
; %bb.87:                               ;   in Loop: Header=BB12_68 Depth=3
	v_mov_b32_e32 v3, s42
	ds_read_b64 v[24:25], v3 offset:24
	s_waitcnt lgkmcnt(0)
	v_pk_add_f32 v[12:13], v[12:13], v[24:25]
	s_branch .LBB12_67
.LBB12_88:                              ;   in Loop: Header=BB12_48 Depth=1
	s_or_b64 exec, exec, s[30:31]
.LBB12_89:                              ;   in Loop: Header=BB12_48 Depth=1
	s_and_saveexec_b64 s[30:31], s[0:1]
	s_cbranch_execz .LBB12_47
; %bb.90:                               ;   in Loop: Header=BB12_48 Depth=1
	v_mad_u64_u32 v[10:11], s[0:1], s6, v21, 0
	ds_read_b64 v[14:15], v20
	v_mov_b32_e32 v12, v11
	v_mad_u64_u32 v[12:13], s[0:1], s7, v21, v[12:13]
	v_mov_b32_e32 v11, v12
	v_lshl_add_u64 v[10:11], v[10:11], 3, s[4:5]
	s_waitcnt lgkmcnt(0)
	flat_store_dwordx2 v[10:11], v[14:15]
	s_branch .LBB12_47
.LBB12_91:
	s_mov_b64 s[0:1], 0
.LBB12_92:
	s_andn2_b64 vcc, exec, s[0:1]
	s_cbranch_vccnz .LBB12_166
; %bb.93:
	s_mov_b64 s[0:1], -1
	s_and_b64 vcc, exec, s[20:21]
	s_cbranch_vccz .LBB12_132
; %bb.94:
	s_andn2_b64 vcc, exec, s[14:15]
	s_cbranch_vccnz .LBB12_131
; %bb.95:
	s_lshl_b32 s20, s13, 1
	s_or_b32 s12, s20, 1
	s_ashr_i32 s21, s20, 31
	s_add_u32 s16, s16, s18
	s_addc_u32 s17, s17, s19
	s_lshl_b64 s[0:1], s[20:21], 9
	s_add_u32 s42, s0, 0xfffc0200
	s_addc_u32 s43, s1, -1
	s_add_u32 s38, s0, 0xfffbfe00
	s_addc_u32 s39, s1, -1
	s_lshl_b64 s[0:1], s[20:21], 1
	s_add_u32 s18, s0, -6
	v_mov_b32_e32 v4, 0
	s_addc_u32 s19, s1, -1
	v_lshlrev_b32_e32 v2, 3, v0
	v_mov_b32_e32 v3, v4
	s_add_u32 s22, s0, -2
	v_mov_b32_e32 v1, v4
	v_lshl_add_u64 v[6:7], s[16:17], 0, v[2:3]
	v_or_b32_e32 v8, 0x200, v0
	s_addc_u32 s23, s1, -1
	s_mov_b64 s[24:25], -1
	s_mov_b64 s[26:27], 0
	s_mov_b64 s[28:29], 0x200
	;; [unrolled: 1-line block ×7, first 2 shown]
	s_branch .LBB12_97
.LBB12_96:                              ;   in Loop: Header=BB12_97 Depth=1
	s_or_b64 exec, exec, s[44:45]
	s_add_u32 s0, s42, 0xfff80000
	s_addc_u32 s1, s43, -1
	s_add_u32 s26, s26, s42
	s_addc_u32 s27, s27, s43
	s_add_u32 s40, s40, 0xfffffc00
	s_addc_u32 s41, s41, -1
	s_add_u32 s24, s24, 0xfffffe00
	s_addc_u32 s25, s25, -1
	;; [unrolled: 2-line block ×3, first 2 shown]
	s_add_u32 s20, s20, s38
	s_addc_u32 s21, s21, s39
	s_add_u32 s18, s18, 0xfffff800
	s_addc_u32 s19, s19, -1
	s_add_u32 s36, s36, 0xfffffe00
	s_addc_u32 s37, s37, -1
	s_add_u32 s22, s22, 0xfffff800
	v_add_u32_e32 v8, 0x200, v8
	s_addc_u32 s23, s23, -1
	s_and_b64 vcc, exec, s[46:47]
	s_mov_b64 s[38:39], s[42:43]
	s_mov_b64 s[42:43], s[0:1]
	;; [unrolled: 1-line block ×3, first 2 shown]
	s_waitcnt lgkmcnt(0)
	s_barrier
	s_cbranch_vccnz .LBB12_131
.LBB12_97:                              ; =>This Loop Header: Depth=1
                                        ;     Child Loop BB12_101 Depth 2
                                        ;     Child Loop BB12_114 Depth 2
                                        ;       Child Loop BB12_116 Depth 3
	v_add_u32_e32 v3, s44, v0
	v_cmp_le_i32_e32 vcc, s13, v3
	v_cmp_gt_i32_e64 s[0:1], s13, v3
	s_and_saveexec_b64 s[2:3], s[0:1]
	s_cbranch_execz .LBB12_99
; %bb.98:                               ;   in Loop: Header=BB12_97 Depth=1
	v_mad_u64_u32 v[10:11], s[46:47], s6, v3, 0
	v_mov_b32_e32 v12, v11
	v_mad_u64_u32 v[12:13], s[46:47], s7, v3, v[12:13]
	v_mov_b32_e32 v11, v12
	v_lshl_add_u64 v[10:11], v[10:11], 3, s[4:5]
	flat_load_dwordx2 v[10:11], v[10:11]
	s_waitcnt vmcnt(0) lgkmcnt(0)
	ds_write_b64 v2, v[10:11]
.LBB12_99:                              ;   in Loop: Header=BB12_97 Depth=1
	s_or_b64 exec, exec, s[2:3]
	v_or_b32_e32 v5, s44, v0
	v_sub_u32_e32 v9, s12, v5
	v_mad_u64_u32 v[10:11], s[46:47], v9, v5, 0
	v_ashrrev_i32_e32 v13, 31, v9
	v_mov_b32_e32 v12, v11
	v_mad_u64_u32 v[12:13], s[46:47], v13, v5, v[12:13]
	v_mov_b32_e32 v11, v12
	v_lshlrev_b64 v[10:11], 2, v[10:11]
	v_and_b32_e32 v10, -8, v10
	v_cmp_le_i32_e64 s[2:3], s13, v5
	v_lshl_add_u64 v[10:11], s[10:11], 0, v[10:11]
	s_mov_b64 s[46:47], 0
	s_mov_b32 s33, 0
	s_xor_b64 s[48:49], vcc, -1
	s_mov_b64 s[50:51], s[26:27]
	s_mov_b64 s[52:53], s[40:41]
	v_mov_b64_e32 v[12:13], v[6:7]
	s_waitcnt lgkmcnt(0)
	s_barrier
	s_branch .LBB12_101
.LBB12_100:                             ;   in Loop: Header=BB12_101 Depth=2
	s_or_b64 exec, exec, s[54:55]
	s_add_u32 s46, s46, 1
	s_addc_u32 s47, s47, 0
	s_add_u32 s54, s52, -2
	s_addc_u32 s55, s53, -1
	s_add_u32 s50, s50, s52
	s_addc_u32 s51, s51, s53
	s_add_i32 s33, s33, 8
	v_lshl_add_u64 v[12:13], v[12:13], 0, -8
	s_cmpk_eq_i32 s46, 0x200
	s_mov_b64 s[52:53], s[54:55]
	s_cbranch_scc1 .LBB12_110
.LBB12_101:                             ;   Parent Loop BB12_97 Depth=1
                                        ; =>  This Inner Loop Header: Depth=2
	v_cmp_ne_u32_e32 vcc, s46, v0
	s_or_b64 s[54:55], s[8:9], vcc
	s_nor_b64 s[56:57], s[54:55], s[2:3]
	s_and_saveexec_b64 s[54:55], s[56:57]
	s_cbranch_execz .LBB12_107
; %bb.102:                              ;   in Loop: Header=BB12_101 Depth=2
	flat_load_dwordx2 v[16:17], v[10:11]
	ds_read_b64 v[14:15], v2
                                        ; implicit-def: $vgpr18_vgpr19
	s_waitcnt vmcnt(0) lgkmcnt(0)
	v_cmp_ngt_f32_e64 s[56:57], |v16|, |v17|
	s_and_saveexec_b64 s[58:59], s[56:57]
	s_xor_b64 s[56:57], exec, s[58:59]
	s_cbranch_execz .LBB12_104
; %bb.103:                              ;   in Loop: Header=BB12_101 Depth=2
	v_div_scale_f32 v5, s[58:59], v17, v17, v16
	v_rcp_f32_e32 v9, v5
	v_div_scale_f32 v18, vcc, v16, v17, v16
	v_fma_f32 v19, -v5, v9, 1.0
	v_fmac_f32_e32 v9, v19, v9
	v_mul_f32_e32 v19, v18, v9
	v_fma_f32 v20, -v5, v19, v18
	v_fmac_f32_e32 v19, v20, v9
	v_fma_f32 v5, -v5, v19, v18
	v_div_fmas_f32 v5, v5, v9, v19
	v_div_fixup_f32 v18, v5, v17, v16
	v_fmac_f32_e32 v17, v16, v18
	v_div_scale_f32 v5, s[58:59], v17, v17, 1.0
	v_rcp_f32_e32 v9, v5
	s_nop 0
	v_fma_f32 v16, -v5, v9, 1.0
	v_fmac_f32_e32 v9, v16, v9
	v_div_scale_f32 v16, vcc, 1.0, v17, 1.0
	v_mul_f32_e32 v19, v16, v9
	v_fma_f32 v20, -v5, v19, v16
	v_fmac_f32_e32 v19, v20, v9
	v_fma_f32 v5, -v5, v19, v16
	v_div_fmas_f32 v5, v5, v9, v19
	v_pk_fma_f32 v[20:21], v[18:19], v[14:15], v[14:15] op_sel:[0,0,1] op_sel_hi:[1,1,0]
	v_pk_fma_f32 v[14:15], v[18:19], v[14:15], v[14:15] op_sel:[0,0,1] op_sel_hi:[0,1,0] neg_lo:[0,0,1] neg_hi:[0,0,1]
	v_div_fixup_f32 v16, v5, v17, 1.0
	v_mov_b32_e32 v21, v15
	v_pk_mul_f32 v[18:19], v[16:17], v[20:21] op_sel_hi:[0,1]
                                        ; implicit-def: $vgpr16_vgpr17
                                        ; implicit-def: $vgpr14_vgpr15
.LBB12_104:                             ;   in Loop: Header=BB12_101 Depth=2
	s_andn2_saveexec_b64 s[56:57], s[56:57]
	s_cbranch_execz .LBB12_106
; %bb.105:                              ;   in Loop: Header=BB12_101 Depth=2
	v_div_scale_f32 v5, s[58:59], v16, v16, v17
	v_rcp_f32_e32 v9, v5
	v_div_scale_f32 v18, vcc, v17, v16, v17
	v_fma_f32 v19, -v5, v9, 1.0
	v_fmac_f32_e32 v9, v19, v9
	v_mul_f32_e32 v19, v18, v9
	v_fma_f32 v20, -v5, v19, v18
	v_fmac_f32_e32 v19, v20, v9
	v_fma_f32 v5, -v5, v19, v18
	v_div_fmas_f32 v5, v5, v9, v19
	v_div_fixup_f32 v18, v5, v16, v17
	v_fmac_f32_e32 v16, v17, v18
	v_div_scale_f32 v5, s[58:59], v16, v16, 1.0
	v_rcp_f32_e32 v9, v5
	s_nop 0
	v_fma_f32 v17, -v5, v9, 1.0
	v_fmac_f32_e32 v9, v17, v9
	v_div_scale_f32 v17, vcc, 1.0, v16, 1.0
	v_mul_f32_e32 v19, v17, v9
	v_fma_f32 v20, -v5, v19, v17
	v_fmac_f32_e32 v19, v20, v9
	v_fma_f32 v5, -v5, v19, v17
	v_div_fmas_f32 v5, v5, v9, v19
	v_pk_fma_f32 v[20:21], v[18:19], v[14:15], v[14:15] op_sel:[0,1,0] op_sel_hi:[1,0,1]
	v_pk_fma_f32 v[14:15], v[18:19], v[14:15], v[14:15] op_sel:[0,1,0] op_sel_hi:[0,0,1] neg_lo:[1,0,0] neg_hi:[1,0,0]
	v_div_fixup_f32 v16, v5, v16, 1.0
	v_mov_b32_e32 v21, v15
	v_pk_mul_f32 v[18:19], v[16:17], v[20:21] op_sel_hi:[0,1]
.LBB12_106:                             ;   in Loop: Header=BB12_101 Depth=2
	s_or_b64 exec, exec, s[56:57]
	ds_write_b64 v2, v[18:19]
.LBB12_107:                             ;   in Loop: Header=BB12_101 Depth=2
	s_or_b64 exec, exec, s[54:55]
	v_cmp_lt_u32_e32 vcc, s46, v0
	s_waitcnt lgkmcnt(0)
	s_barrier
	s_and_saveexec_b64 s[54:55], vcc
	s_cbranch_execz .LBB12_100
; %bb.108:                              ;   in Loop: Header=BB12_101 Depth=2
	s_add_i32 s56, s44, s46
	s_cmp_lt_i32 s56, s13
	s_cselect_b64 s[56:57], -1, 0
	s_and_b64 s[56:57], s[48:49], s[56:57]
	s_and_b64 exec, exec, s[56:57]
	s_cbranch_execz .LBB12_100
; %bb.109:                              ;   in Loop: Header=BB12_101 Depth=2
	s_lshl_b64 s[56:57], s[50:51], 2
	s_and_b32 s56, s56, -8
	v_lshl_add_u64 v[14:15], v[12:13], 0, s[56:57]
	flat_load_dwordx2 v[14:15], v[14:15]
	v_mov_b32_e32 v5, s33
	ds_read_b64 v[16:17], v5
	ds_read_b64 v[18:19], v2
	s_waitcnt vmcnt(0) lgkmcnt(0)
	v_pk_mul_f32 v[20:21], v[16:17], v[14:15] op_sel:[1,1] op_sel_hi:[0,1]
	v_pk_fma_f32 v[22:23], v[16:17], v[14:15], v[20:21] neg_lo:[0,0,1] neg_hi:[0,0,1]
	v_pk_fma_f32 v[14:15], v[16:17], v[14:15], v[20:21] op_sel_hi:[1,0,1]
	s_nop 0
	v_mov_b32_e32 v23, v15
	v_pk_add_f32 v[14:15], v[18:19], v[22:23] neg_lo:[0,1] neg_hi:[0,1]
	ds_write_b64 v2, v[14:15]
	s_branch .LBB12_100
.LBB12_110:                             ;   in Loop: Header=BB12_97 Depth=1
	s_add_u32 s2, s44, 0x200
	s_addc_u32 s3, s45, 0
	s_cmp_ge_i32 s2, s13
	s_cselect_b64 s[46:47], -1, 0
	s_and_b64 vcc, exec, s[46:47]
	s_waitcnt lgkmcnt(0)
	s_barrier
	s_cbranch_vccnz .LBB12_129
; %bb.111:                              ;   in Loop: Header=BB12_97 Depth=1
	v_ashrrev_i32_e32 v9, 31, v8
	v_lshl_add_u64 v[10:11], s[24:25], 0, v[8:9]
	v_lshl_add_u64 v[12:13], s[36:37], 0, v[8:9]
	s_mov_b32 s33, s2
	v_lshl_add_u64 v[10:11], v[10:11], 3, s[16:17]
	v_lshl_add_u64 v[12:13], v[12:13], 3, s[16:17]
	s_mov_b64 s[48:49], 0
	v_mov_b64_e32 v[14:15], v[0:1]
                                        ; implicit-def: $sgpr50_sgpr51
	s_branch .LBB12_114
.LBB12_112:                             ;   in Loop: Header=BB12_114 Depth=2
	v_mad_u64_u32 v[18:19], s[54:55], s6, v9, 0
	v_mov_b32_e32 v20, v19
	v_mad_u64_u32 v[20:21], s[54:55], s7, v9, v[20:21]
	v_mov_b32_e32 v19, v20
	v_lshl_add_u64 v[18:19], v[18:19], 3, s[4:5]
	flat_load_dwordx2 v[20:21], v[18:19]
	s_addk_i32 s33, 0x200
	s_cmp_ge_i32 s33, s13
	s_cselect_b64 s[54:55], -1, 0
	s_andn2_b64 s[50:51], s[50:51], exec
	s_and_b64 s[54:55], s[54:55], exec
	v_lshl_add_u64 v[10:11], v[10:11], 0, s[34:35]
	v_lshl_add_u64 v[12:13], v[12:13], 0, s[34:35]
	s_or_b64 s[50:51], s[50:51], s[54:55]
	s_waitcnt vmcnt(0) lgkmcnt(0)
	v_pk_add_f32 v[16:17], v[20:21], v[16:17] neg_lo:[0,1] neg_hi:[0,1]
	flat_store_dwordx2 v[18:19], v[16:17]
.LBB12_113:                             ;   in Loop: Header=BB12_114 Depth=2
	s_or_b64 exec, exec, s[52:53]
	s_and_b64 s[52:53], exec, s[50:51]
	s_or_b64 s[48:49], s[52:53], s[48:49]
	s_andn2_b64 exec, exec, s[48:49]
	s_cbranch_execz .LBB12_128
.LBB12_114:                             ;   Parent Loop BB12_97 Depth=1
                                        ; =>  This Loop Header: Depth=2
                                        ;       Child Loop BB12_116 Depth 3
	v_add_u32_e32 v9, s33, v0
	v_cmp_gt_i32_e32 vcc, s13, v9
	s_or_b64 s[50:51], s[50:51], exec
	s_and_saveexec_b64 s[52:53], vcc
	s_cbranch_execz .LBB12_113
; %bb.115:                              ;   in Loop: Header=BB12_114 Depth=2
	v_mov_b32_e32 v5, v4
	v_lshl_add_u64 v[18:19], v[14:15], 0, s[30:31]
	v_lshl_add_u64 v[14:15], v[14:15], 0, s[28:29]
	s_mov_b64 s[54:55], 0
	s_mov_b32 s45, 0
	s_mov_b64 s[56:57], s[26:27]
	s_mov_b64 s[60:61], s[22:23]
	v_mov_b64_e32 v[20:21], v[12:13]
	s_mov_b64 s[58:59], s[20:21]
	s_mov_b64 s[62:63], s[18:19]
	v_mov_b64_e32 v[22:23], v[10:11]
	v_mov_b64_e32 v[16:17], v[4:5]
.LBB12_116:                             ;   Parent Loop BB12_97 Depth=1
                                        ;     Parent Loop BB12_114 Depth=2
                                        ; =>    This Inner Loop Header: Depth=3
	v_cmp_ne_u32_e32 vcc, s54, v14
	s_xor_b64 s[64:65], s[8:9], -1
	s_add_u32 s68, s44, s54
	s_or_b64 s[66:67], s[64:65], vcc
	s_and_saveexec_b64 s[70:71], s[66:67]
	s_xor_b64 s[66:67], exec, s[70:71]
	s_cbranch_execz .LBB12_119
; %bb.117:                              ;   in Loop: Header=BB12_116 Depth=3
	s_cmp_ge_i32 s68, s13
	s_cbranch_scc1 .LBB12_119
; %bb.118:                              ;   in Loop: Header=BB12_116 Depth=3
	s_lshl_b64 s[70:71], s[56:57], 2
	s_and_b32 s70, s70, -8
	v_lshl_add_u64 v[24:25], v[20:21], 0, s[70:71]
	flat_load_dwordx2 v[24:25], v[24:25]
	v_mov_b32_e32 v5, s45
	ds_read_b64 v[26:27], v5
	s_waitcnt vmcnt(0) lgkmcnt(0)
	v_pk_mul_f32 v[28:29], v[26:27], v[24:25] op_sel:[1,1] op_sel_hi:[0,1]
	v_pk_fma_f32 v[30:31], v[26:27], v[24:25], v[28:29] neg_lo:[0,0,1] neg_hi:[0,0,1]
	v_pk_fma_f32 v[24:25], v[26:27], v[24:25], v[28:29] op_sel_hi:[1,0,1]
	s_nop 0
	v_mov_b32_e32 v31, v25
	v_pk_add_f32 v[16:17], v[16:17], v[30:31]
.LBB12_119:                             ;   in Loop: Header=BB12_116 Depth=3
	s_andn2_saveexec_b64 s[66:67], s[66:67]
	s_cbranch_execz .LBB12_121
; %bb.120:                              ;   in Loop: Header=BB12_116 Depth=3
	v_mov_b32_e32 v5, s45
	ds_read_b64 v[24:25], v5
	s_waitcnt lgkmcnt(0)
	v_pk_add_f32 v[16:17], v[16:17], v[24:25]
.LBB12_121:                             ;   in Loop: Header=BB12_116 Depth=3
	s_or_b64 exec, exec, s[66:67]
	v_cmp_ne_u32_e32 vcc, s54, v18
	s_or_b64 s[64:65], s[64:65], vcc
	s_and_saveexec_b64 s[66:67], s[64:65]
	s_xor_b64 s[64:65], exec, s[66:67]
	s_cbranch_execz .LBB12_124
; %bb.122:                              ;   in Loop: Header=BB12_116 Depth=3
	s_add_i32 s68, s68, 1
	s_cmp_ge_i32 s68, s13
	s_cbranch_scc1 .LBB12_124
; %bb.123:                              ;   in Loop: Header=BB12_116 Depth=3
	s_lshl_b64 s[66:67], s[58:59], 2
	s_and_b32 s66, s66, -8
	v_lshl_add_u64 v[24:25], v[22:23], 0, s[66:67]
	flat_load_dwordx2 v[24:25], v[24:25]
	v_mov_b32_e32 v5, s45
	ds_read_b64 v[26:27], v5 offset:8
	s_waitcnt vmcnt(0) lgkmcnt(0)
	v_pk_mul_f32 v[28:29], v[26:27], v[24:25] op_sel:[1,1] op_sel_hi:[0,1]
	v_pk_fma_f32 v[30:31], v[26:27], v[24:25], v[28:29] neg_lo:[0,0,1] neg_hi:[0,0,1]
	v_pk_fma_f32 v[24:25], v[26:27], v[24:25], v[28:29] op_sel_hi:[1,0,1]
	s_nop 0
	v_mov_b32_e32 v31, v25
	v_pk_add_f32 v[16:17], v[16:17], v[30:31]
.LBB12_124:                             ;   in Loop: Header=BB12_116 Depth=3
	s_andn2_saveexec_b64 s[64:65], s[64:65]
	s_cbranch_execz .LBB12_126
; %bb.125:                              ;   in Loop: Header=BB12_116 Depth=3
	v_mov_b32_e32 v5, s45
	ds_read_b64 v[24:25], v5 offset:8
	s_waitcnt lgkmcnt(0)
	v_pk_add_f32 v[16:17], v[16:17], v[24:25]
.LBB12_126:                             ;   in Loop: Header=BB12_116 Depth=3
	s_or_b64 exec, exec, s[64:65]
	s_add_u32 s54, s54, 2
	s_addc_u32 s55, s55, 0
	s_add_u32 s64, s62, -8
	s_addc_u32 s65, s63, -1
	s_add_u32 s58, s58, s62
	s_addc_u32 s59, s59, s63
	s_add_i32 s45, s45, 16
	s_add_u32 s62, s60, -8
	s_addc_u32 s63, s61, -1
	s_add_u32 s56, s56, s60
	s_addc_u32 s57, s57, s61
	v_lshl_add_u64 v[22:23], v[22:23], 0, -16
	s_cmpk_eq_i32 s54, 0x200
	v_lshl_add_u64 v[20:21], v[20:21], 0, -16
	s_cbranch_scc1 .LBB12_112
; %bb.127:                              ;   in Loop: Header=BB12_116 Depth=3
	s_mov_b64 s[60:61], s[62:63]
	s_mov_b64 s[62:63], s[64:65]
	s_branch .LBB12_116
.LBB12_128:                             ;   in Loop: Header=BB12_97 Depth=1
	s_or_b64 exec, exec, s[48:49]
.LBB12_129:                             ;   in Loop: Header=BB12_97 Depth=1
	s_and_saveexec_b64 s[44:45], s[0:1]
	s_cbranch_execz .LBB12_96
; %bb.130:                              ;   in Loop: Header=BB12_97 Depth=1
	v_mad_u64_u32 v[10:11], s[0:1], s6, v3, 0
	ds_read_b64 v[14:15], v2
	v_mov_b32_e32 v12, v11
	v_mad_u64_u32 v[12:13], s[0:1], s7, v3, v[12:13]
	v_mov_b32_e32 v11, v12
	v_lshl_add_u64 v[10:11], v[10:11], 3, s[4:5]
	s_waitcnt lgkmcnt(0)
	flat_store_dwordx2 v[10:11], v[14:15]
	s_branch .LBB12_96
.LBB12_131:
	s_mov_b64 s[0:1], 0
.LBB12_132:
	s_andn2_b64 vcc, exec, s[0:1]
	s_cbranch_vccnz .LBB12_166
; %bb.133:
	s_andn2_b64 vcc, exec, s[14:15]
	s_cbranch_vccnz .LBB12_166
; %bb.134:
	v_mov_b32_e32 v1, 0x2000
	v_mov_b32_e32 v3, 0
	s_movk_i32 s18, 0xfe00
	s_add_i32 s37, s13, 0xfffffe00
	v_lshl_or_b32 v22, v0, 3, v1
	s_mov_b32 s33, 0
	s_mov_b32 s36, s13
	v_mov_b32_e32 v1, v3
	s_mov_b64 s[12:13], 0xfffffdff
	s_mov_b64 s[14:15], 0xfffffe00
	s_xor_b64 s[16:17], s[8:9], -1
	s_mov_b32 s19, -1
	s_branch .LBB12_136
.LBB12_135:                             ;   in Loop: Header=BB12_136 Depth=1
	s_or_b64 exec, exec, s[20:21]
	s_add_u32 s36, s36, 0xfffffe00
	s_addc_u32 s33, s33, -1
	s_and_b64 vcc, exec, s[2:3]
	s_mov_b32 s37, s38
	s_waitcnt lgkmcnt(0)
	s_barrier
	s_cbranch_vccnz .LBB12_166
.LBB12_136:                             ; =>This Loop Header: Depth=1
                                        ;     Child Loop BB12_140 Depth 2
                                        ;     Child Loop BB12_152 Depth 2
                                        ;       Child Loop BB12_155 Depth 3
	v_add_u32_e32 v4, s37, v0
	v_cmp_gt_i32_e32 vcc, 0, v4
	v_cmp_lt_i32_e64 s[0:1], -1, v4
	v_mov_b32_e32 v5, v3
	s_and_saveexec_b64 s[2:3], s[0:1]
	s_cbranch_execz .LBB12_138
; %bb.137:                              ;   in Loop: Header=BB12_136 Depth=1
	v_mad_u64_u32 v[6:7], s[20:21], s6, v4, 0
	v_mov_b32_e32 v2, v7
	v_mad_u64_u32 v[8:9], s[20:21], s7, v4, v[2:3]
	v_mov_b32_e32 v7, v8
	v_lshl_add_u64 v[6:7], v[6:7], 3, s[4:5]
	flat_load_dwordx2 v[6:7], v[6:7]
	s_waitcnt vmcnt(0) lgkmcnt(0)
	ds_write_b64 v22, v[6:7]
.LBB12_138:                             ;   in Loop: Header=BB12_136 Depth=1
	s_or_b64 exec, exec, s[2:3]
	v_add_u32_e32 v2, 1, v4
	v_mad_u64_u32 v[8:9], s[2:3], v4, v2, 0
	v_lshlrev_b64 v[8:9], 2, v[8:9]
	v_ashrrev_i32_e32 v7, 31, v4
	v_mov_b32_e32 v6, v4
	v_lshl_add_u64 v[10:11], v[4:5], 3, s[10:11]
	v_and_b32_e32 v8, -8, v8
	s_or_b64 s[2:3], s[8:9], vcc
	v_lshl_add_u64 v[6:7], v[6:7], 3, s[10:11]
	v_lshl_add_u64 v[8:9], v[10:11], 0, v[8:9]
	s_movk_i32 s24, 0x1ff
	s_movk_i32 s25, 0x2ff8
	s_xor_b64 s[20:21], s[2:3], -1
	s_waitcnt lgkmcnt(0)
	s_barrier
	s_branch .LBB12_140
.LBB12_139:                             ;   in Loop: Header=BB12_140 Depth=2
	s_or_b64 exec, exec, s[2:3]
	s_add_i32 s24, s24, -1
	s_add_i32 s25, s25, -8
	s_cmp_eq_u32 s24, -1
	s_cbranch_scc1 .LBB12_148
.LBB12_140:                             ;   Parent Loop BB12_136 Depth=1
                                        ; =>  This Inner Loop Header: Depth=2
	v_cmp_eq_u32_e32 vcc, s24, v0
	s_and_b64 s[22:23], vcc, s[20:21]
	s_and_saveexec_b64 s[2:3], s[22:23]
	s_cbranch_execz .LBB12_146
; %bb.141:                              ;   in Loop: Header=BB12_140 Depth=2
	flat_load_dwordx2 v[12:13], v[8:9]
	ds_read_b64 v[10:11], v22
                                        ; implicit-def: $vgpr14_vgpr15
	s_waitcnt vmcnt(0) lgkmcnt(0)
	v_cmp_ngt_f32_e64 s[22:23], |v12|, |v13|
	s_and_saveexec_b64 s[26:27], s[22:23]
	s_xor_b64 s[22:23], exec, s[26:27]
	s_cbranch_execz .LBB12_143
; %bb.142:                              ;   in Loop: Header=BB12_140 Depth=2
	v_div_scale_f32 v2, s[26:27], v13, v13, v12
	v_rcp_f32_e32 v5, v2
	v_div_scale_f32 v14, vcc, v12, v13, v12
	v_fma_f32 v15, -v2, v5, 1.0
	v_fmac_f32_e32 v5, v15, v5
	v_mul_f32_e32 v15, v14, v5
	v_fma_f32 v16, -v2, v15, v14
	v_fmac_f32_e32 v15, v16, v5
	v_fma_f32 v2, -v2, v15, v14
	v_div_fmas_f32 v2, v2, v5, v15
	v_div_fixup_f32 v2, v2, v13, v12
	v_fmac_f32_e32 v13, v12, v2
	v_div_scale_f32 v5, s[26:27], v13, v13, 1.0
	v_rcp_f32_e32 v12, v5
	s_nop 0
	v_fma_f32 v14, -v5, v12, 1.0
	v_fmac_f32_e32 v12, v14, v12
	v_div_scale_f32 v14, vcc, 1.0, v13, 1.0
	v_mul_f32_e32 v15, v14, v12
	v_fma_f32 v16, -v5, v15, v14
	v_fmac_f32_e32 v15, v16, v12
	v_fma_f32 v5, -v5, v15, v14
	v_div_fmas_f32 v5, v5, v12, v15
	v_pk_fma_f32 v[14:15], v[2:3], v[10:11], v[10:11] op_sel:[0,0,1] op_sel_hi:[1,1,0]
	v_pk_fma_f32 v[10:11], v[2:3], v[10:11], v[10:11] op_sel:[0,0,1] op_sel_hi:[0,1,0] neg_lo:[0,0,1] neg_hi:[0,0,1]
	v_div_fixup_f32 v12, v5, v13, 1.0
	v_mov_b32_e32 v15, v11
	v_pk_mul_f32 v[14:15], v[12:13], v[14:15] op_sel_hi:[0,1]
                                        ; implicit-def: $vgpr12_vgpr13
                                        ; implicit-def: $vgpr10_vgpr11
.LBB12_143:                             ;   in Loop: Header=BB12_140 Depth=2
	s_andn2_saveexec_b64 s[22:23], s[22:23]
	s_cbranch_execz .LBB12_145
; %bb.144:                              ;   in Loop: Header=BB12_140 Depth=2
	v_div_scale_f32 v2, s[26:27], v12, v12, v13
	v_rcp_f32_e32 v5, v2
	v_div_scale_f32 v14, vcc, v13, v12, v13
	v_fma_f32 v15, -v2, v5, 1.0
	v_fmac_f32_e32 v5, v15, v5
	v_mul_f32_e32 v15, v14, v5
	v_fma_f32 v16, -v2, v15, v14
	v_fmac_f32_e32 v15, v16, v5
	v_fma_f32 v2, -v2, v15, v14
	v_div_fmas_f32 v2, v2, v5, v15
	v_div_fixup_f32 v2, v2, v12, v13
	v_fmac_f32_e32 v12, v13, v2
	v_div_scale_f32 v5, s[26:27], v12, v12, 1.0
	v_rcp_f32_e32 v13, v5
	s_nop 0
	v_fma_f32 v14, -v5, v13, 1.0
	v_fmac_f32_e32 v13, v14, v13
	v_div_scale_f32 v14, vcc, 1.0, v12, 1.0
	v_mul_f32_e32 v15, v14, v13
	v_fma_f32 v16, -v5, v15, v14
	v_fmac_f32_e32 v15, v16, v13
	v_fma_f32 v5, -v5, v15, v14
	v_div_fmas_f32 v5, v5, v13, v15
	v_pk_fma_f32 v[14:15], v[2:3], v[10:11], v[10:11] op_sel:[0,1,0] op_sel_hi:[1,0,1]
	v_pk_fma_f32 v[10:11], v[2:3], v[10:11], v[10:11] op_sel:[0,1,0] op_sel_hi:[0,0,1] neg_lo:[1,0,0] neg_hi:[1,0,0]
	v_div_fixup_f32 v12, v5, v12, 1.0
	v_mov_b32_e32 v15, v11
	v_pk_mul_f32 v[14:15], v[12:13], v[14:15] op_sel_hi:[0,1]
.LBB12_145:                             ;   in Loop: Header=BB12_140 Depth=2
	s_or_b64 exec, exec, s[22:23]
	ds_write_b64 v22, v[14:15]
.LBB12_146:                             ;   in Loop: Header=BB12_140 Depth=2
	s_or_b64 exec, exec, s[2:3]
	s_add_i32 s23, s36, s24
	s_add_i32 s22, s23, 0xfffffe00
	v_or_b32_e32 v2, s22, v4
	v_cmp_gt_u32_e32 vcc, s24, v0
	v_cmp_lt_i32_e64 s[2:3], -1, v2
	s_and_b64 s[26:27], vcc, s[2:3]
	s_waitcnt lgkmcnt(0)
	s_barrier
	s_and_saveexec_b64 s[2:3], s[26:27]
	s_cbranch_execz .LBB12_139
; %bb.147:                              ;   in Loop: Header=BB12_140 Depth=2
	s_add_i32 s26, s23, 0xfffffe01
	s_mul_hi_u32 s23, s26, s22
	s_mul_i32 s22, s26, s22
	s_lshl_b64 s[22:23], s[22:23], 2
	s_and_b32 s22, s22, -8
	v_lshl_add_u64 v[10:11], v[6:7], 0, s[22:23]
	flat_load_dwordx2 v[10:11], v[10:11]
	v_mov_b32_e32 v2, s25
	ds_read_b64 v[12:13], v2
	ds_read_b64 v[14:15], v22
	s_waitcnt vmcnt(0) lgkmcnt(0)
	v_pk_mul_f32 v[16:17], v[12:13], v[10:11] op_sel:[1,1] op_sel_hi:[0,1]
	v_pk_fma_f32 v[18:19], v[12:13], v[10:11], v[16:17] neg_lo:[0,0,1] neg_hi:[0,0,1]
	v_pk_fma_f32 v[10:11], v[12:13], v[10:11], v[16:17] op_sel_hi:[1,0,1]
	s_nop 0
	v_mov_b32_e32 v19, v11
	v_pk_add_f32 v[10:11], v[14:15], v[18:19] neg_lo:[0,1] neg_hi:[0,1]
	ds_write_b64 v22, v[10:11]
	s_branch .LBB12_139
.LBB12_148:                             ;   in Loop: Header=BB12_136 Depth=1
	s_add_i32 s38, s37, 0xfffffe00
	s_cmp_lt_i32 s37, 1
	s_cselect_b64 s[2:3], -1, 0
	s_and_b64 vcc, exec, s[2:3]
	s_waitcnt lgkmcnt(0)
	s_barrier
	s_cbranch_vccnz .LBB12_164
; %bb.149:                              ;   in Loop: Header=BB12_136 Depth=1
	s_mov_b64 s[20:21], 0
	v_mov_b64_e32 v[6:7], v[0:1]
	s_mov_b32 s39, s38
                                        ; implicit-def: $sgpr22_sgpr23
	s_branch .LBB12_152
.LBB12_150:                             ;   in Loop: Header=BB12_152 Depth=2
	v_mad_u64_u32 v[10:11], s[26:27], s6, v2, 0
	v_mov_b32_e32 v12, v11
	v_mad_u64_u32 v[12:13], s[26:27], s7, v2, v[12:13]
	v_mov_b32_e32 v11, v12
	v_lshl_add_u64 v[10:11], v[10:11], 3, s[4:5]
	flat_load_dwordx2 v[12:13], v[10:11]
	s_add_i32 s28, s39, 0xfffffe00
	s_cmp_lt_i32 s39, 1
	s_cselect_b64 s[26:27], -1, 0
	s_andn2_b64 s[22:23], s[22:23], exec
	s_and_b64 s[26:27], s[26:27], exec
	v_lshl_add_u64 v[6:7], v[6:7], 0, s[18:19]
	s_or_b64 s[22:23], s[22:23], s[26:27]
	s_mov_b32 s39, s28
	s_waitcnt vmcnt(0) lgkmcnt(0)
	v_pk_add_f32 v[8:9], v[12:13], v[8:9] neg_lo:[0,1] neg_hi:[0,1]
	flat_store_dwordx2 v[10:11], v[8:9]
.LBB12_151:                             ;   in Loop: Header=BB12_152 Depth=2
	s_or_b64 exec, exec, s[24:25]
	s_and_b64 s[24:25], exec, s[22:23]
	s_or_b64 s[20:21], s[24:25], s[20:21]
	s_andn2_b64 exec, exec, s[20:21]
	s_cbranch_execz .LBB12_163
.LBB12_152:                             ;   Parent Loop BB12_136 Depth=1
                                        ; =>  This Loop Header: Depth=2
                                        ;       Child Loop BB12_155 Depth 3
	v_add_u32_e32 v2, s39, v0
	v_cmp_lt_i32_e32 vcc, -1, v2
	s_or_b64 s[22:23], s[22:23], exec
	s_and_saveexec_b64 s[24:25], vcc
	s_cbranch_execz .LBB12_151
; %bb.153:                              ;   in Loop: Header=BB12_152 Depth=2
	v_mov_b32_e32 v8, 0
	v_lshl_add_u64 v[10:11], v[2:3], 3, s[10:11]
	v_lshl_add_u64 v[12:13], v[6:7], 0, s[12:13]
	;; [unrolled: 1-line block ×3, first 2 shown]
	s_movk_i32 s40, 0x2000
	s_mov_b64 s[26:27], 0
	v_mov_b32_e32 v9, v8
	s_branch .LBB12_155
.LBB12_154:                             ;   in Loop: Header=BB12_155 Depth=3
	s_or_b64 exec, exec, s[28:29]
	s_add_i32 s40, s40, 16
	s_add_u32 s26, s26, 2
	s_waitcnt lgkmcnt(0)
	v_pk_add_f32 v[8:9], v[8:9], v[16:17]
	s_addc_u32 s27, s27, 0
	s_cmpk_eq_i32 s26, 0x200
	v_pk_add_f32 v[8:9], v[8:9], v[18:19]
	s_cbranch_scc1 .LBB12_150
.LBB12_155:                             ;   Parent Loop BB12_136 Depth=1
                                        ;     Parent Loop BB12_152 Depth=2
                                        ; =>    This Inner Loop Header: Depth=3
	v_cmp_ne_u32_e32 vcc, s26, v14
	s_or_b64 s[34:35], s[16:17], vcc
                                        ; implicit-def: $vgpr17
                                        ; implicit-def: $sgpr28_sgpr29
                                        ; implicit-def: $sgpr30_sgpr31
	s_and_saveexec_b64 s[42:43], s[34:35]
	s_xor_b64 s[34:35], exec, s[42:43]
	s_cbranch_execz .LBB12_157
; %bb.156:                              ;   in Loop: Header=BB12_155 Depth=3
	s_add_u32 s28, s36, s26
	s_addc_u32 s29, s33, s27
	s_add_u32 s30, s28, 0xfffffe01
	s_addc_u32 s31, s29, 0
	;; [unrolled: 2-line block ×3, first 2 shown]
	s_mul_i32 s42, s30, s42
	s_mul_hi_u32 s43, s30, s41
	s_add_i32 s43, s43, s42
	s_mul_i32 s42, s30, s41
	s_lshl_b64 s[42:43], s[42:43], 2
	s_and_b32 s42, s42, -8
	v_lshl_add_u64 v[16:17], v[10:11], 0, s[42:43]
	flat_load_dwordx2 v[16:17], v[16:17]
	v_mov_b32_e32 v5, s40
	ds_read_b64 v[18:19], v5
	s_waitcnt vmcnt(0) lgkmcnt(0)
	v_pk_mul_f32 v[20:21], v[18:19], v[16:17] op_sel:[1,1] op_sel_hi:[0,1]
	v_pk_mul_f32 v[24:25], v[18:19], v[16:17] op_sel_hi:[1,0]
	v_pk_fma_f32 v[16:17], v[18:19], v[16:17], v[20:21] op_sel_hi:[1,0,1]
	s_nop 0
	v_sub_f32_e32 v16, v24, v20
.LBB12_157:                             ;   in Loop: Header=BB12_155 Depth=3
	s_or_saveexec_b64 s[34:35], s[34:35]
	v_mov_b64_e32 v[18:19], s[30:31]
	v_mov_b64_e32 v[20:21], s[28:29]
	s_xor_b64 exec, exec, s[34:35]
	s_cbranch_execz .LBB12_159
; %bb.158:                              ;   in Loop: Header=BB12_155 Depth=3
	v_mov_b32_e32 v5, s40
	ds_read_b64 v[16:17], v5
	s_add_u32 s28, s36, s26
	s_addc_u32 s29, s33, s27
	s_add_u32 s30, s28, 0xfffffe01
	s_addc_u32 s31, s29, 0
	v_mov_b64_e32 v[18:19], s[30:31]
	v_mov_b64_e32 v[20:21], s[28:29]
.LBB12_159:                             ;   in Loop: Header=BB12_155 Depth=3
	s_or_b64 exec, exec, s[34:35]
	v_cmp_ne_u32_e32 vcc, s26, v12
	s_or_b64 s[28:29], s[16:17], vcc
                                        ; implicit-def: $vgpr19
	s_and_saveexec_b64 s[30:31], s[28:29]
	s_xor_b64 s[28:29], exec, s[30:31]
	s_cbranch_execz .LBB12_161
; %bb.160:                              ;   in Loop: Header=BB12_155 Depth=3
	v_add_u32_e32 v5, 0xfffffe02, v20
	v_mad_u64_u32 v[18:19], s[30:31], v5, v18, 0
	v_lshlrev_b64 v[18:19], 2, v[18:19]
	v_and_b32_e32 v18, -8, v18
	v_lshl_add_u64 v[18:19], v[10:11], 0, v[18:19]
	flat_load_dwordx2 v[18:19], v[18:19]
	v_mov_b32_e32 v5, s40
	ds_read_b64 v[20:21], v5 offset:8
	s_waitcnt vmcnt(0) lgkmcnt(0)
	v_pk_mul_f32 v[24:25], v[20:21], v[18:19] op_sel:[1,1] op_sel_hi:[0,1]
	v_pk_mul_f32 v[26:27], v[20:21], v[18:19] op_sel_hi:[1,0]
	v_pk_fma_f32 v[18:19], v[20:21], v[18:19], v[24:25] op_sel_hi:[1,0,1]
	s_nop 0
	v_sub_f32_e32 v18, v26, v24
.LBB12_161:                             ;   in Loop: Header=BB12_155 Depth=3
	s_andn2_saveexec_b64 s[28:29], s[28:29]
	s_cbranch_execz .LBB12_154
; %bb.162:                              ;   in Loop: Header=BB12_155 Depth=3
	v_mov_b32_e32 v5, s40
	ds_read_b64 v[18:19], v5 offset:8
	s_branch .LBB12_154
.LBB12_163:                             ;   in Loop: Header=BB12_136 Depth=1
	s_or_b64 exec, exec, s[20:21]
.LBB12_164:                             ;   in Loop: Header=BB12_136 Depth=1
	s_and_saveexec_b64 s[20:21], s[0:1]
	s_cbranch_execz .LBB12_135
; %bb.165:                              ;   in Loop: Header=BB12_136 Depth=1
	v_mad_u64_u32 v[6:7], s[0:1], s6, v4, 0
	ds_read_b64 v[8:9], v22
	v_mov_b32_e32 v2, v7
	v_mad_u64_u32 v[4:5], s[0:1], s7, v4, v[2:3]
	v_mov_b32_e32 v7, v4
	v_lshl_add_u64 v[4:5], v[6:7], 3, s[4:5]
	s_waitcnt lgkmcnt(0)
	flat_store_dwordx2 v[4:5], v[8:9]
	s_branch .LBB12_135
.LBB12_166:
	s_endpgm
	.section	.rodata,"a",@progbits
	.p2align	6, 0x0
	.amdhsa_kernel _ZL19rocblas_tpsv_kernelILb1ELi512EPKPK19rocblas_complex_numIfEPKPS1_Ev18rocblas_operation_bbiT1_llT2_lll
		.amdhsa_group_segment_fixed_size 16384
		.amdhsa_private_segment_fixed_size 0
		.amdhsa_kernarg_size 72
		.amdhsa_user_sgpr_count 2
		.amdhsa_user_sgpr_dispatch_ptr 0
		.amdhsa_user_sgpr_queue_ptr 0
		.amdhsa_user_sgpr_kernarg_segment_ptr 1
		.amdhsa_user_sgpr_dispatch_id 0
		.amdhsa_user_sgpr_kernarg_preload_length 0
		.amdhsa_user_sgpr_kernarg_preload_offset 0
		.amdhsa_user_sgpr_private_segment_size 0
		.amdhsa_uses_dynamic_stack 0
		.amdhsa_enable_private_segment 0
		.amdhsa_system_sgpr_workgroup_id_x 1
		.amdhsa_system_sgpr_workgroup_id_y 0
		.amdhsa_system_sgpr_workgroup_id_z 0
		.amdhsa_system_sgpr_workgroup_info 0
		.amdhsa_system_vgpr_workitem_id 0
		.amdhsa_next_free_vgpr 34
		.amdhsa_next_free_sgpr 72
		.amdhsa_accum_offset 36
		.amdhsa_reserve_vcc 1
		.amdhsa_float_round_mode_32 0
		.amdhsa_float_round_mode_16_64 0
		.amdhsa_float_denorm_mode_32 3
		.amdhsa_float_denorm_mode_16_64 3
		.amdhsa_dx10_clamp 1
		.amdhsa_ieee_mode 1
		.amdhsa_fp16_overflow 0
		.amdhsa_tg_split 0
		.amdhsa_exception_fp_ieee_invalid_op 0
		.amdhsa_exception_fp_denorm_src 0
		.amdhsa_exception_fp_ieee_div_zero 0
		.amdhsa_exception_fp_ieee_overflow 0
		.amdhsa_exception_fp_ieee_underflow 0
		.amdhsa_exception_fp_ieee_inexact 0
		.amdhsa_exception_int_div_zero 0
	.end_amdhsa_kernel
	.section	.text._ZL19rocblas_tpsv_kernelILb1ELi512EPKPK19rocblas_complex_numIfEPKPS1_Ev18rocblas_operation_bbiT1_llT2_lll,"axG",@progbits,_ZL19rocblas_tpsv_kernelILb1ELi512EPKPK19rocblas_complex_numIfEPKPS1_Ev18rocblas_operation_bbiT1_llT2_lll,comdat
.Lfunc_end12:
	.size	_ZL19rocblas_tpsv_kernelILb1ELi512EPKPK19rocblas_complex_numIfEPKPS1_Ev18rocblas_operation_bbiT1_llT2_lll, .Lfunc_end12-_ZL19rocblas_tpsv_kernelILb1ELi512EPKPK19rocblas_complex_numIfEPKPS1_Ev18rocblas_operation_bbiT1_llT2_lll
                                        ; -- End function
	.set _ZL19rocblas_tpsv_kernelILb1ELi512EPKPK19rocblas_complex_numIfEPKPS1_Ev18rocblas_operation_bbiT1_llT2_lll.num_vgpr, 34
	.set _ZL19rocblas_tpsv_kernelILb1ELi512EPKPK19rocblas_complex_numIfEPKPS1_Ev18rocblas_operation_bbiT1_llT2_lll.num_agpr, 0
	.set _ZL19rocblas_tpsv_kernelILb1ELi512EPKPK19rocblas_complex_numIfEPKPS1_Ev18rocblas_operation_bbiT1_llT2_lll.numbered_sgpr, 72
	.set _ZL19rocblas_tpsv_kernelILb1ELi512EPKPK19rocblas_complex_numIfEPKPS1_Ev18rocblas_operation_bbiT1_llT2_lll.num_named_barrier, 0
	.set _ZL19rocblas_tpsv_kernelILb1ELi512EPKPK19rocblas_complex_numIfEPKPS1_Ev18rocblas_operation_bbiT1_llT2_lll.private_seg_size, 0
	.set _ZL19rocblas_tpsv_kernelILb1ELi512EPKPK19rocblas_complex_numIfEPKPS1_Ev18rocblas_operation_bbiT1_llT2_lll.uses_vcc, 1
	.set _ZL19rocblas_tpsv_kernelILb1ELi512EPKPK19rocblas_complex_numIfEPKPS1_Ev18rocblas_operation_bbiT1_llT2_lll.uses_flat_scratch, 0
	.set _ZL19rocblas_tpsv_kernelILb1ELi512EPKPK19rocblas_complex_numIfEPKPS1_Ev18rocblas_operation_bbiT1_llT2_lll.has_dyn_sized_stack, 0
	.set _ZL19rocblas_tpsv_kernelILb1ELi512EPKPK19rocblas_complex_numIfEPKPS1_Ev18rocblas_operation_bbiT1_llT2_lll.has_recursion, 0
	.set _ZL19rocblas_tpsv_kernelILb1ELi512EPKPK19rocblas_complex_numIfEPKPS1_Ev18rocblas_operation_bbiT1_llT2_lll.has_indirect_call, 0
	.section	.AMDGPU.csdata,"",@progbits
; Kernel info:
; codeLenInByte = 7424
; TotalNumSgprs: 78
; NumVgprs: 34
; NumAgprs: 0
; TotalNumVgprs: 34
; ScratchSize: 0
; MemoryBound: 0
; FloatMode: 240
; IeeeMode: 1
; LDSByteSize: 16384 bytes/workgroup (compile time only)
; SGPRBlocks: 9
; VGPRBlocks: 4
; NumSGPRsForWavesPerEU: 78
; NumVGPRsForWavesPerEU: 34
; AccumOffset: 36
; Occupancy: 8
; WaveLimiterHint : 1
; COMPUTE_PGM_RSRC2:SCRATCH_EN: 0
; COMPUTE_PGM_RSRC2:USER_SGPR: 2
; COMPUTE_PGM_RSRC2:TRAP_HANDLER: 0
; COMPUTE_PGM_RSRC2:TGID_X_EN: 1
; COMPUTE_PGM_RSRC2:TGID_Y_EN: 0
; COMPUTE_PGM_RSRC2:TGID_Z_EN: 0
; COMPUTE_PGM_RSRC2:TIDIG_COMP_CNT: 0
; COMPUTE_PGM_RSRC3_GFX90A:ACCUM_OFFSET: 8
; COMPUTE_PGM_RSRC3_GFX90A:TG_SPLIT: 0
	.section	.text._ZL19rocblas_tpsv_kernelILb0ELi512EPKPK19rocblas_complex_numIfEPKPS1_Ev18rocblas_operation_bbiT1_llT2_lll,"axG",@progbits,_ZL19rocblas_tpsv_kernelILb0ELi512EPKPK19rocblas_complex_numIfEPKPS1_Ev18rocblas_operation_bbiT1_llT2_lll,comdat
	.globl	_ZL19rocblas_tpsv_kernelILb0ELi512EPKPK19rocblas_complex_numIfEPKPS1_Ev18rocblas_operation_bbiT1_llT2_lll ; -- Begin function _ZL19rocblas_tpsv_kernelILb0ELi512EPKPK19rocblas_complex_numIfEPKPS1_Ev18rocblas_operation_bbiT1_llT2_lll
	.p2align	8
	.type	_ZL19rocblas_tpsv_kernelILb0ELi512EPKPK19rocblas_complex_numIfEPKPS1_Ev18rocblas_operation_bbiT1_llT2_lll,@function
_ZL19rocblas_tpsv_kernelILb0ELi512EPKPK19rocblas_complex_numIfEPKPS1_Ev18rocblas_operation_bbiT1_llT2_lll: ; @_ZL19rocblas_tpsv_kernelILb0ELi512EPKPK19rocblas_complex_numIfEPKPS1_Ev18rocblas_operation_bbiT1_llT2_lll
; %bb.0:
	s_load_dwordx2 s[22:23], s[0:1], 0x0
	s_load_dwordx2 s[12:13], s[0:1], 0x4
	s_load_dwordx4 s[16:19], s[0:1], 0x10
	s_load_dwordx2 s[14:15], s[0:1], 0x28
	s_mov_b32 s3, 0
	s_waitcnt lgkmcnt(0)
	s_bitcmp1_b32 s23, 0
	s_cselect_b64 s[4:5], -1, 0
	s_xor_b64 s[20:21], s[4:5], -1
	s_bitcmp1_b32 s12, 8
	s_cselect_b64 s[8:9], -1, 0
	s_lshl_b64 s[2:3], s[2:3], 3
	s_add_u32 s10, s16, s2
	s_addc_u32 s11, s17, s3
	s_load_dwordx2 s[16:17], s[10:11], 0x0
	s_load_dwordx4 s[4:7], s[0:1], 0x30
	s_lshl_b64 s[18:19], s[18:19], 3
	s_waitcnt lgkmcnt(0)
	s_add_u32 s10, s16, s18
	s_addc_u32 s11, s17, s19
	s_add_u32 s0, s14, s2
	s_addc_u32 s1, s15, s3
	s_load_dwordx2 s[0:1], s[0:1], 0x0
	s_lshl_b64 s[2:3], s[4:5], 3
	s_waitcnt lgkmcnt(0)
	s_add_u32 s4, s0, s2
	s_addc_u32 s5, s1, s3
	s_cmp_gt_i32 s13, 0
	s_cselect_b64 s[14:15], -1, 0
	s_cmpk_lg_i32 s22, 0x6f
	s_mov_b64 s[0:1], -1
	s_cbranch_scc0 .LBB13_92
; %bb.1:
	s_and_b64 vcc, exec, s[20:21]
	s_cbranch_vccz .LBB13_44
; %bb.2:
	s_andn2_b64 vcc, exec, s[14:15]
	s_cbranch_vccnz .LBB13_43
; %bb.3:
	s_lshl_b32 s2, s13, 1
	s_ashr_i32 s1, s13, 31
	s_mov_b32 s0, s13
	s_add_i32 s38, s13, 0xfffffe00
	s_or_b32 s12, s2, 1
	s_lshl_b64 s[0:1], s[0:1], 3
	s_add_u32 s0, s18, s0
	s_addc_u32 s1, s19, s1
	s_add_u32 s0, s16, s0
	s_addc_u32 s1, s17, s1
	v_mov_b32_e32 v1, 0x1000
	s_add_u32 s22, s0, 0xfffff000
	v_add_u32_e32 v2, s13, v0
	v_lshl_or_b32 v1, v0, 3, v1
	v_sub_u32_e32 v20, 0, v0
	s_addc_u32 s23, s1, -1
	v_add_u32_e32 v21, 0xfffffc00, v2
	s_ashr_i32 s33, s2, 31
	v_mov_b32_e32 v3, 0
	s_movk_i32 s40, 0x400
	s_xor_b64 s[24:25], s[8:9], -1
	s_movk_i32 s41, 0x401
	s_movk_i32 s42, 0x402
	;; [unrolled: 1-line block ×3, first 2 shown]
	s_mov_b64 s[26:27], 0x1000
	s_mov_b64 s[28:29], 0x200
	s_branch .LBB13_5
.LBB13_4:                               ;   in Loop: Header=BB13_5 Depth=1
	s_or_b64 exec, exec, s[30:31]
	s_add_u32 s22, s22, 0xfffff000
	s_addc_u32 s23, s23, -1
	v_add_u32_e32 v21, 0xfffffe00, v21
	s_andn2_b64 vcc, exec, s[2:3]
	s_mov_b32 s38, s44
	s_waitcnt lgkmcnt(0)
	s_barrier
	s_cbranch_vccz .LBB13_43
.LBB13_5:                               ; =>This Loop Header: Depth=1
                                        ;     Child Loop BB13_9 Depth 2
                                        ;     Child Loop BB13_21 Depth 2
                                        ;       Child Loop BB13_24 Depth 3
	v_add_u32_e32 v22, s38, v0
	v_cmp_gt_i32_e64 s[2:3], 0, v22
	v_cmp_lt_i32_e64 s[0:1], -1, v22
	s_and_saveexec_b64 s[30:31], s[0:1]
	s_cbranch_execz .LBB13_7
; %bb.6:                                ;   in Loop: Header=BB13_5 Depth=1
	v_mad_u64_u32 v[4:5], s[34:35], s6, v22, 0
	v_mov_b32_e32 v2, v5
	v_mad_u64_u32 v[6:7], s[34:35], s7, v22, v[2:3]
	v_mov_b32_e32 v5, v6
	v_lshl_add_u64 v[4:5], v[4:5], 3, s[4:5]
	flat_load_dwordx2 v[4:5], v[4:5]
	s_waitcnt vmcnt(0) lgkmcnt(0)
	ds_write_b64 v1, v[4:5]
.LBB13_7:                               ;   in Loop: Header=BB13_5 Depth=1
	s_or_b64 exec, exec, s[30:31]
	v_sub_u32_e32 v2, s12, v22
	v_mad_u64_u32 v[4:5], s[30:31], v22, v2, 0
	v_ashrrev_i32_e32 v6, 31, v2
	v_mov_b32_e32 v2, v5
	v_mad_u64_u32 v[6:7], s[30:31], v22, v6, v[2:3]
	v_mov_b32_e32 v5, v6
	v_lshlrev_b64 v[4:5], 2, v[4:5]
	v_and_b32_e32 v4, -8, v4
	s_or_b64 s[30:31], s[8:9], s[2:3]
	s_not_b32 s39, s38
	v_lshl_add_u64 v[4:5], s[10:11], 0, v[4:5]
	s_movk_i32 s44, 0x1ff
	s_movk_i32 s45, 0x1ff8
	s_xor_b64 s[30:31], s[30:31], -1
	s_waitcnt lgkmcnt(0)
	s_barrier
	s_branch .LBB13_9
.LBB13_8:                               ;   in Loop: Header=BB13_9 Depth=2
	s_or_b64 exec, exec, s[34:35]
	s_add_i32 s44, s44, -1
	s_add_i32 s45, s45, -8
	s_cmp_eq_u32 s44, -1
	s_cbranch_scc1 .LBB13_17
.LBB13_9:                               ;   Parent Loop BB13_5 Depth=1
                                        ; =>  This Inner Loop Header: Depth=2
	v_add_u32_e32 v2, s44, v20
	v_cmp_eq_u32_e32 vcc, 0, v2
	s_and_b64 s[36:37], vcc, s[30:31]
	s_and_saveexec_b64 s[34:35], s[36:37]
	s_cbranch_execz .LBB13_15
; %bb.10:                               ;   in Loop: Header=BB13_9 Depth=2
	flat_load_dwordx2 v[8:9], v[4:5]
	ds_read_b64 v[6:7], v1
                                        ; implicit-def: $vgpr10_vgpr11
	s_waitcnt vmcnt(0) lgkmcnt(0)
	v_cmp_ngt_f32_e64 s[36:37], |v8|, |v9|
	s_and_saveexec_b64 s[46:47], s[36:37]
	s_xor_b64 s[36:37], exec, s[46:47]
	s_cbranch_execz .LBB13_12
; %bb.11:                               ;   in Loop: Header=BB13_9 Depth=2
	v_div_scale_f32 v10, s[46:47], v9, v9, v8
	v_rcp_f32_e32 v11, v10
	v_div_scale_f32 v12, vcc, v8, v9, v8
	v_fma_f32 v13, -v10, v11, 1.0
	v_fmac_f32_e32 v11, v13, v11
	v_mul_f32_e32 v13, v12, v11
	v_fma_f32 v14, -v10, v13, v12
	v_fmac_f32_e32 v13, v14, v11
	v_fma_f32 v10, -v10, v13, v12
	v_div_fmas_f32 v10, v10, v11, v13
	v_div_fixup_f32 v10, v10, v9, v8
	v_fmac_f32_e32 v9, v8, v10
	v_div_scale_f32 v8, s[46:47], v9, v9, 1.0
	v_rcp_f32_e32 v11, v8
	s_nop 0
	v_fma_f32 v12, -v8, v11, 1.0
	v_fmac_f32_e32 v11, v12, v11
	v_div_scale_f32 v12, vcc, 1.0, v9, 1.0
	v_mul_f32_e32 v13, v12, v11
	v_fma_f32 v14, -v8, v13, v12
	v_fmac_f32_e32 v13, v14, v11
	v_fma_f32 v8, -v8, v13, v12
	v_div_fmas_f32 v8, v8, v11, v13
	v_pk_fma_f32 v[12:13], v[10:11], v[6:7], v[6:7] op_sel:[0,0,1] op_sel_hi:[1,1,0]
	v_pk_fma_f32 v[6:7], v[10:11], v[6:7], v[6:7] op_sel:[0,0,1] op_sel_hi:[0,1,0] neg_lo:[0,0,1] neg_hi:[0,0,1]
	v_div_fixup_f32 v8, v8, v9, 1.0
	v_mov_b32_e32 v13, v7
	v_pk_mul_f32 v[10:11], v[8:9], v[12:13] op_sel_hi:[0,1]
                                        ; implicit-def: $vgpr8_vgpr9
                                        ; implicit-def: $vgpr6_vgpr7
.LBB13_12:                              ;   in Loop: Header=BB13_9 Depth=2
	s_andn2_saveexec_b64 s[36:37], s[36:37]
	s_cbranch_execz .LBB13_14
; %bb.13:                               ;   in Loop: Header=BB13_9 Depth=2
	v_div_scale_f32 v10, s[46:47], v8, v8, v9
	v_rcp_f32_e32 v11, v10
	v_div_scale_f32 v12, vcc, v9, v8, v9
	v_fma_f32 v13, -v10, v11, 1.0
	v_fmac_f32_e32 v11, v13, v11
	v_mul_f32_e32 v13, v12, v11
	v_fma_f32 v14, -v10, v13, v12
	v_fmac_f32_e32 v13, v14, v11
	v_fma_f32 v10, -v10, v13, v12
	v_div_fmas_f32 v10, v10, v11, v13
	v_div_fixup_f32 v10, v10, v8, v9
	v_fmac_f32_e32 v8, v9, v10
	v_div_scale_f32 v9, s[46:47], v8, v8, 1.0
	v_rcp_f32_e32 v11, v9
	s_nop 0
	v_fma_f32 v12, -v9, v11, 1.0
	v_fmac_f32_e32 v11, v12, v11
	v_div_scale_f32 v12, vcc, 1.0, v8, 1.0
	v_mul_f32_e32 v13, v12, v11
	v_fma_f32 v14, -v9, v13, v12
	v_fmac_f32_e32 v13, v14, v11
	v_fma_f32 v9, -v9, v13, v12
	v_div_fmas_f32 v9, v9, v11, v13
	v_pk_fma_f32 v[12:13], v[10:11], v[6:7], v[6:7] op_sel:[0,1,0] op_sel_hi:[1,0,1]
	v_pk_fma_f32 v[6:7], v[10:11], v[6:7], v[6:7] op_sel:[0,1,0] op_sel_hi:[0,0,1] neg_lo:[1,0,0] neg_hi:[1,0,0]
	v_div_fixup_f32 v8, v9, v8, 1.0
	v_mov_b32_e32 v13, v7
	v_pk_mul_f32 v[10:11], v[8:9], v[12:13] op_sel_hi:[0,1]
.LBB13_14:                              ;   in Loop: Header=BB13_9 Depth=2
	s_or_b64 exec, exec, s[36:37]
	ds_write_b64 v1, v[10:11]
.LBB13_15:                              ;   in Loop: Header=BB13_9 Depth=2
	s_or_b64 exec, exec, s[34:35]
	s_cmp_le_i32 s44, s39
	v_cmp_le_u32_e32 vcc, s44, v0
	s_cselect_b64 s[34:35], -1, 0
	s_or_b64 s[34:35], vcc, s[34:35]
	s_nor_b64 s[36:37], s[2:3], s[34:35]
	s_waitcnt lgkmcnt(0)
	s_barrier
	s_and_saveexec_b64 s[34:35], s[36:37]
	s_cbranch_execz .LBB13_8
; %bb.16:                               ;   in Loop: Header=BB13_9 Depth=2
	v_lshl_add_u64 v[6:7], v[2:3], 3, v[4:5]
	flat_load_dwordx2 v[6:7], v[6:7]
	v_mov_b32_e32 v2, s45
	ds_read_b64 v[8:9], v2
	ds_read_b64 v[10:11], v1
	s_waitcnt vmcnt(0) lgkmcnt(0)
	v_pk_mul_f32 v[12:13], v[8:9], v[6:7] op_sel:[1,1] op_sel_hi:[0,1]
	v_pk_fma_f32 v[14:15], v[8:9], v[6:7], v[12:13] neg_lo:[0,0,1] neg_hi:[0,0,1]
	v_pk_fma_f32 v[6:7], v[8:9], v[6:7], v[12:13] op_sel_hi:[1,0,1]
	s_nop 0
	v_mov_b32_e32 v15, v7
	v_pk_add_f32 v[6:7], v[10:11], v[14:15] neg_lo:[0,1] neg_hi:[0,1]
	ds_write_b64 v1, v[6:7]
	s_branch .LBB13_8
.LBB13_17:                              ;   in Loop: Header=BB13_5 Depth=1
	s_add_i32 s44, s38, 0xfffffe00
	s_cmp_lt_i32 s38, 1
	s_cselect_b64 s[2:3], -1, 0
	s_and_b64 vcc, exec, s[2:3]
	s_waitcnt lgkmcnt(0)
	s_barrier
	s_cbranch_vccnz .LBB13_41
; %bb.18:                               ;   in Loop: Header=BB13_5 Depth=1
	v_ashrrev_i32_e32 v2, 31, v21
	v_mad_i64_i32 v[4:5], s[30:31], v21, -8, s[22:23]
	v_mov_b32_e32 v7, s33
	v_sub_co_u32_e32 v6, vcc, s12, v21
	s_mov_b64 s[30:31], 0
	s_nop 0
	v_subb_co_u32_e32 v7, vcc, v7, v2, vcc
	v_mov_b32_e32 v2, v21
	v_mov_b32_e32 v23, v0
	s_mov_b32 s45, s44
                                        ; implicit-def: $sgpr34_sgpr35
	s_branch .LBB13_21
.LBB13_19:                              ;   in Loop: Header=BB13_21 Depth=2
	v_mad_u64_u32 v[10:11], s[38:39], s6, v24, 0
	v_mov_b32_e32 v12, v11
	v_mad_u64_u32 v[12:13], s[38:39], s7, v24, v[12:13]
	v_mov_b32_e32 v11, v12
	v_lshl_add_u64 v[10:11], v[10:11], 3, s[4:5]
	flat_load_dwordx2 v[12:13], v[10:11]
	s_add_i32 s46, s45, 0xfffffe00
	s_cmp_lt_i32 s45, 1
	s_cselect_b64 s[38:39], -1, 0
	s_andn2_b64 s[34:35], s[34:35], exec
	s_and_b64 s[38:39], s[38:39], exec
	v_add_u32_e32 v23, 0xfffffe00, v23
	v_lshl_add_u64 v[4:5], v[4:5], 0, s[26:27]
	v_lshl_add_u64 v[6:7], v[6:7], 0, s[28:29]
	v_add_u32_e32 v2, 0xfffffe00, v2
	s_or_b64 s[34:35], s[34:35], s[38:39]
	s_mov_b32 s45, s46
	s_waitcnt vmcnt(0) lgkmcnt(0)
	v_pk_add_f32 v[8:9], v[12:13], v[8:9] neg_lo:[0,1] neg_hi:[0,1]
	flat_store_dwordx2 v[10:11], v[8:9]
.LBB13_20:                              ;   in Loop: Header=BB13_21 Depth=2
	s_or_b64 exec, exec, s[36:37]
	s_and_b64 s[36:37], exec, s[34:35]
	s_or_b64 s[30:31], s[36:37], s[30:31]
	s_andn2_b64 exec, exec, s[30:31]
	s_cbranch_execz .LBB13_40
.LBB13_21:                              ;   Parent Loop BB13_5 Depth=1
                                        ; =>  This Loop Header: Depth=2
                                        ;       Child Loop BB13_24 Depth 3
	v_add_u32_e32 v24, s45, v0
	v_cmp_lt_i32_e32 vcc, -1, v24
	s_or_b64 s[34:35], s[34:35], exec
	s_and_saveexec_b64 s[36:37], vcc
	s_cbranch_execz .LBB13_20
; %bb.22:                               ;   in Loop: Header=BB13_21 Depth=2
	v_mad_u64_u32 v[8:9], s[38:39], v6, v2, 0
	v_mov_b32_e32 v10, v9
	v_mad_u64_u32 v[10:11], s[38:39], v7, v2, v[10:11]
	v_mov_b32_e32 v9, v10
	v_lshlrev_b64 v[8:9], 2, v[8:9]
	v_and_b32_e32 v8, -8, v8
	v_lshl_add_u64 v[10:11], v[4:5], 0, v[8:9]
	v_mov_b32_e32 v8, 0
	s_movk_i32 s46, 0x1000
	s_movk_i32 s47, 0x200
	v_mov_b32_e32 v9, v8
	s_branch .LBB13_24
.LBB13_23:                              ;   in Loop: Header=BB13_24 Depth=3
	s_or_b64 exec, exec, s[38:39]
	s_waitcnt lgkmcnt(0)
	v_pk_add_f32 v[8:9], v[8:9], v[12:13]
	s_add_i32 s46, s46, 32
	v_pk_add_f32 v[8:9], v[8:9], v[14:15]
	s_add_i32 s47, s47, -4
	v_pk_add_f32 v[8:9], v[8:9], v[16:17]
	s_cmp_eq_u32 s47, 0
	v_pk_add_f32 v[8:9], v[8:9], v[18:19]
	v_lshl_add_u64 v[10:11], v[10:11], 0, 32
	s_cbranch_scc1 .LBB13_19
.LBB13_24:                              ;   Parent Loop BB13_5 Depth=1
                                        ;     Parent Loop BB13_21 Depth=2
                                        ; =>    This Inner Loop Header: Depth=3
	v_add_u32_e32 v18, s47, v23
	v_cmp_ne_u32_e32 vcc, s40, v18
	s_or_b64 s[38:39], s[24:25], vcc
                                        ; implicit-def: $vgpr13
	s_and_saveexec_b64 s[48:49], s[38:39]
	s_xor_b64 s[38:39], exec, s[48:49]
	s_cbranch_execz .LBB13_26
; %bb.25:                               ;   in Loop: Header=BB13_24 Depth=3
	flat_load_dwordx2 v[12:13], v[10:11]
	v_mov_b32_e32 v14, s46
	ds_read_b64 v[14:15], v14
	s_waitcnt vmcnt(0) lgkmcnt(0)
	v_pk_mul_f32 v[16:17], v[14:15], v[12:13] op_sel:[1,1] op_sel_hi:[0,1]
	v_pk_mul_f32 v[26:27], v[14:15], v[12:13] op_sel_hi:[1,0]
	v_pk_fma_f32 v[12:13], v[14:15], v[12:13], v[16:17] op_sel_hi:[1,0,1]
	s_nop 0
	v_sub_f32_e32 v12, v26, v16
.LBB13_26:                              ;   in Loop: Header=BB13_24 Depth=3
	s_andn2_saveexec_b64 s[38:39], s[38:39]
; %bb.27:                               ;   in Loop: Header=BB13_24 Depth=3
	v_mov_b32_e32 v12, s46
	ds_read_b64 v[12:13], v12
; %bb.28:                               ;   in Loop: Header=BB13_24 Depth=3
	s_or_b64 exec, exec, s[38:39]
	v_cmp_ne_u32_e32 vcc, s41, v18
	s_or_b64 s[38:39], s[24:25], vcc
                                        ; implicit-def: $vgpr15
	s_and_saveexec_b64 s[48:49], s[38:39]
	s_xor_b64 s[38:39], exec, s[48:49]
	s_cbranch_execz .LBB13_30
; %bb.29:                               ;   in Loop: Header=BB13_24 Depth=3
	flat_load_dwordx2 v[14:15], v[10:11] offset:8
	v_mov_b32_e32 v16, s46
	ds_read_b64 v[16:17], v16 offset:8
	s_waitcnt vmcnt(0) lgkmcnt(0)
	v_pk_mul_f32 v[26:27], v[16:17], v[14:15] op_sel:[1,1] op_sel_hi:[0,1]
	v_pk_mul_f32 v[28:29], v[16:17], v[14:15] op_sel_hi:[1,0]
	v_pk_fma_f32 v[14:15], v[16:17], v[14:15], v[26:27] op_sel_hi:[1,0,1]
	s_nop 0
	v_sub_f32_e32 v14, v28, v26
.LBB13_30:                              ;   in Loop: Header=BB13_24 Depth=3
	s_andn2_saveexec_b64 s[38:39], s[38:39]
; %bb.31:                               ;   in Loop: Header=BB13_24 Depth=3
	v_mov_b32_e32 v14, s46
	ds_read_b64 v[14:15], v14 offset:8
; %bb.32:                               ;   in Loop: Header=BB13_24 Depth=3
	s_or_b64 exec, exec, s[38:39]
	v_cmp_ne_u32_e32 vcc, s42, v18
	s_or_b64 s[38:39], s[24:25], vcc
                                        ; implicit-def: $vgpr17
	s_and_saveexec_b64 s[48:49], s[38:39]
	s_xor_b64 s[38:39], exec, s[48:49]
	s_cbranch_execz .LBB13_34
; %bb.33:                               ;   in Loop: Header=BB13_24 Depth=3
	flat_load_dwordx2 v[16:17], v[10:11] offset:16
	v_mov_b32_e32 v19, s46
	ds_read_b64 v[26:27], v19 offset:16
	s_waitcnt vmcnt(0) lgkmcnt(0)
	v_pk_mul_f32 v[28:29], v[26:27], v[16:17] op_sel:[1,1] op_sel_hi:[0,1]
	v_pk_mul_f32 v[30:31], v[26:27], v[16:17] op_sel_hi:[1,0]
	v_pk_fma_f32 v[16:17], v[26:27], v[16:17], v[28:29] op_sel_hi:[1,0,1]
	s_nop 0
	v_sub_f32_e32 v16, v30, v28
.LBB13_34:                              ;   in Loop: Header=BB13_24 Depth=3
	s_andn2_saveexec_b64 s[38:39], s[38:39]
; %bb.35:                               ;   in Loop: Header=BB13_24 Depth=3
	v_mov_b32_e32 v16, s46
	ds_read_b64 v[16:17], v16 offset:16
; %bb.36:                               ;   in Loop: Header=BB13_24 Depth=3
	s_or_b64 exec, exec, s[38:39]
	v_cmp_ne_u32_e32 vcc, s43, v18
	s_or_b64 s[38:39], s[24:25], vcc
                                        ; implicit-def: $vgpr19
	s_and_saveexec_b64 s[48:49], s[38:39]
	s_xor_b64 s[38:39], exec, s[48:49]
	s_cbranch_execz .LBB13_38
; %bb.37:                               ;   in Loop: Header=BB13_24 Depth=3
	flat_load_dwordx2 v[18:19], v[10:11] offset:24
	v_mov_b32_e32 v25, s46
	ds_read_b64 v[26:27], v25 offset:24
	s_waitcnt vmcnt(0) lgkmcnt(0)
	v_pk_mul_f32 v[28:29], v[26:27], v[18:19] op_sel:[1,1] op_sel_hi:[0,1]
	v_pk_mul_f32 v[30:31], v[26:27], v[18:19] op_sel_hi:[1,0]
	v_pk_fma_f32 v[18:19], v[26:27], v[18:19], v[28:29] op_sel_hi:[1,0,1]
	s_nop 0
	v_sub_f32_e32 v18, v30, v28
.LBB13_38:                              ;   in Loop: Header=BB13_24 Depth=3
	s_andn2_saveexec_b64 s[38:39], s[38:39]
	s_cbranch_execz .LBB13_23
; %bb.39:                               ;   in Loop: Header=BB13_24 Depth=3
	v_mov_b32_e32 v18, s46
	ds_read_b64 v[18:19], v18 offset:24
	s_branch .LBB13_23
.LBB13_40:                              ;   in Loop: Header=BB13_5 Depth=1
	s_or_b64 exec, exec, s[30:31]
.LBB13_41:                              ;   in Loop: Header=BB13_5 Depth=1
	s_and_saveexec_b64 s[30:31], s[0:1]
	s_cbranch_execz .LBB13_4
; %bb.42:                               ;   in Loop: Header=BB13_5 Depth=1
	v_mad_u64_u32 v[4:5], s[0:1], s6, v22, 0
	ds_read_b64 v[6:7], v1
	v_mov_b32_e32 v2, v5
	v_mad_u64_u32 v[8:9], s[0:1], s7, v22, v[2:3]
	v_mov_b32_e32 v5, v8
	v_lshl_add_u64 v[4:5], v[4:5], 3, s[4:5]
	s_waitcnt lgkmcnt(0)
	flat_store_dwordx2 v[4:5], v[6:7]
	s_branch .LBB13_4
.LBB13_43:
	s_mov_b64 s[0:1], 0
.LBB13_44:
	s_andn2_b64 vcc, exec, s[0:1]
	s_cbranch_vccnz .LBB13_91
; %bb.45:
	s_andn2_b64 vcc, exec, s[14:15]
	s_cbranch_vccnz .LBB13_91
; %bb.46:
	v_mov_b32_e32 v2, 0
	v_mov_b32_e32 v1, v2
	v_mad_u64_u32 v[4:5], s[0:1], v0, v0, v[0:1]
	v_lshlrev_b32_e32 v6, 10, v0
	v_mov_b32_e32 v7, v2
	s_mov_b64 s[0:1], 0x40200
	v_lshlrev_b32_e32 v20, 3, v0
	v_lshl_add_u64 v[8:9], v[6:7], 0, s[0:1]
	v_or_b32_e32 v6, 0x200, v0
	s_mov_b32 s12, 0
	v_add_u32_e32 v1, 0x201, v0
	s_xor_b64 s[22:23], s[8:9], -1
	s_mov_b64 s[24:25], 0x200
	s_mov_b64 s[26:27], 0x80000
	;; [unrolled: 1-line block ×3, first 2 shown]
	s_branch .LBB13_48
.LBB13_47:                              ;   in Loop: Header=BB13_48 Depth=1
	s_or_b64 exec, exec, s[30:31]
	s_add_u32 s28, s28, 0x1000
	v_lshl_add_u64 v[10:11], v[8:9], 0, s[26:27]
	s_addc_u32 s29, s29, 0
	v_lshl_add_u64 v[4:5], v[4:5], 0, v[8:9]
	v_lshl_add_u64 v[6:7], v[6:7], 0, s[24:25]
	v_add_u32_e32 v1, 0x200, v1
	s_and_b64 vcc, exec, s[2:3]
	v_mov_b64_e32 v[8:9], v[10:11]
	s_mov_b32 s12, s33
	s_waitcnt lgkmcnt(0)
	s_barrier
	s_cbranch_vccnz .LBB13_91
.LBB13_48:                              ; =>This Loop Header: Depth=1
                                        ;     Child Loop BB13_52 Depth 2
                                        ;     Child Loop BB13_65 Depth 2
                                        ;       Child Loop BB13_68 Depth 3
	v_add_u32_e32 v21, s12, v0
	v_cmp_le_i32_e32 vcc, s13, v21
	v_cmp_gt_i32_e64 s[0:1], s13, v21
	s_and_saveexec_b64 s[2:3], s[0:1]
	s_cbranch_execz .LBB13_50
; %bb.49:                               ;   in Loop: Header=BB13_48 Depth=1
	v_mad_u64_u32 v[10:11], s[30:31], s6, v21, 0
	v_mov_b32_e32 v12, v11
	v_mad_u64_u32 v[12:13], s[30:31], s7, v21, v[12:13]
	v_mov_b32_e32 v11, v12
	v_lshl_add_u64 v[10:11], v[10:11], 3, s[4:5]
	flat_load_dwordx2 v[10:11], v[10:11]
	s_waitcnt vmcnt(0) lgkmcnt(0)
	ds_write_b64 v20, v[10:11]
.LBB13_50:                              ;   in Loop: Header=BB13_48 Depth=1
	s_or_b64 exec, exec, s[2:3]
	v_or_b32_e32 v12, s12, v0
	v_add_u32_e32 v3, 1, v12
	v_mad_u64_u32 v[14:15], s[30:31], v3, v12, 0
	v_lshlrev_b64 v[10:11], 2, v[4:5]
	v_mov_b32_e32 v13, v2
	v_lshlrev_b64 v[14:15], 2, v[14:15]
	v_and_b32_e32 v10, -8, v10
	v_cmp_le_i32_e64 s[2:3], s13, v12
	v_lshl_add_u64 v[12:13], v[12:13], 3, s[10:11]
	v_and_b32_e32 v14, -8, v14
	v_lshl_add_u64 v[10:11], s[28:29], 0, v[10:11]
	v_lshl_add_u64 v[12:13], v[12:13], 0, v[14:15]
	s_mov_b32 s33, 0
	s_xor_b64 s[30:31], vcc, -1
	s_mov_b32 s38, 0
	s_waitcnt lgkmcnt(0)
	s_barrier
	s_branch .LBB13_52
.LBB13_51:                              ;   in Loop: Header=BB13_52 Depth=2
	s_or_b64 exec, exec, s[34:35]
	s_add_i32 s38, s38, 1
	s_add_i32 s33, s33, 8
	s_cmpk_eq_i32 s38, 0x200
	v_lshl_add_u64 v[10:11], v[10:11], 0, 8
	s_cbranch_scc1 .LBB13_61
.LBB13_52:                              ;   Parent Loop BB13_48 Depth=1
                                        ; =>  This Inner Loop Header: Depth=2
	v_cmp_ne_u32_e32 vcc, s38, v0
	s_or_b64 s[34:35], s[8:9], vcc
	s_nor_b64 s[36:37], s[34:35], s[2:3]
	s_and_saveexec_b64 s[34:35], s[36:37]
	s_cbranch_execz .LBB13_58
; %bb.53:                               ;   in Loop: Header=BB13_52 Depth=2
	flat_load_dwordx2 v[16:17], v[12:13]
	ds_read_b64 v[14:15], v20
                                        ; implicit-def: $vgpr18_vgpr19
	s_waitcnt vmcnt(0) lgkmcnt(0)
	v_cmp_ngt_f32_e64 s[36:37], |v16|, |v17|
	s_and_saveexec_b64 s[40:41], s[36:37]
	s_xor_b64 s[36:37], exec, s[40:41]
	s_cbranch_execz .LBB13_55
; %bb.54:                               ;   in Loop: Header=BB13_52 Depth=2
	v_div_scale_f32 v3, s[40:41], v17, v17, v16
	v_rcp_f32_e32 v18, v3
	v_div_scale_f32 v19, vcc, v16, v17, v16
	v_fma_f32 v22, -v3, v18, 1.0
	v_fmac_f32_e32 v18, v22, v18
	v_mul_f32_e32 v22, v19, v18
	v_fma_f32 v23, -v3, v22, v19
	v_fmac_f32_e32 v22, v23, v18
	v_fma_f32 v3, -v3, v22, v19
	v_div_fmas_f32 v3, v3, v18, v22
	v_div_fixup_f32 v18, v3, v17, v16
	v_fmac_f32_e32 v17, v16, v18
	v_div_scale_f32 v3, s[40:41], v17, v17, 1.0
	v_rcp_f32_e32 v16, v3
	s_nop 0
	v_fma_f32 v19, -v3, v16, 1.0
	v_fmac_f32_e32 v16, v19, v16
	v_div_scale_f32 v19, vcc, 1.0, v17, 1.0
	v_mul_f32_e32 v22, v19, v16
	v_fma_f32 v23, -v3, v22, v19
	v_fmac_f32_e32 v22, v23, v16
	v_fma_f32 v3, -v3, v22, v19
	v_div_fmas_f32 v3, v3, v16, v22
	v_pk_fma_f32 v[22:23], v[18:19], v[14:15], v[14:15] op_sel:[0,0,1] op_sel_hi:[1,1,0]
	v_pk_fma_f32 v[14:15], v[18:19], v[14:15], v[14:15] op_sel:[0,0,1] op_sel_hi:[0,1,0] neg_lo:[0,0,1] neg_hi:[0,0,1]
	v_div_fixup_f32 v16, v3, v17, 1.0
	v_mov_b32_e32 v23, v15
	v_pk_mul_f32 v[18:19], v[16:17], v[22:23] op_sel_hi:[0,1]
                                        ; implicit-def: $vgpr16_vgpr17
                                        ; implicit-def: $vgpr14_vgpr15
.LBB13_55:                              ;   in Loop: Header=BB13_52 Depth=2
	s_andn2_saveexec_b64 s[36:37], s[36:37]
	s_cbranch_execz .LBB13_57
; %bb.56:                               ;   in Loop: Header=BB13_52 Depth=2
	v_div_scale_f32 v3, s[40:41], v16, v16, v17
	v_rcp_f32_e32 v18, v3
	v_div_scale_f32 v19, vcc, v17, v16, v17
	v_fma_f32 v22, -v3, v18, 1.0
	v_fmac_f32_e32 v18, v22, v18
	v_mul_f32_e32 v22, v19, v18
	v_fma_f32 v23, -v3, v22, v19
	v_fmac_f32_e32 v22, v23, v18
	v_fma_f32 v3, -v3, v22, v19
	v_div_fmas_f32 v3, v3, v18, v22
	v_div_fixup_f32 v18, v3, v16, v17
	v_fmac_f32_e32 v16, v17, v18
	v_div_scale_f32 v3, s[40:41], v16, v16, 1.0
	v_rcp_f32_e32 v17, v3
	s_nop 0
	v_fma_f32 v19, -v3, v17, 1.0
	v_fmac_f32_e32 v17, v19, v17
	v_div_scale_f32 v19, vcc, 1.0, v16, 1.0
	v_mul_f32_e32 v22, v19, v17
	v_fma_f32 v23, -v3, v22, v19
	v_fmac_f32_e32 v22, v23, v17
	v_fma_f32 v3, -v3, v22, v19
	v_div_fmas_f32 v3, v3, v17, v22
	v_pk_fma_f32 v[22:23], v[18:19], v[14:15], v[14:15] op_sel:[0,1,0] op_sel_hi:[1,0,1]
	v_pk_fma_f32 v[14:15], v[18:19], v[14:15], v[14:15] op_sel:[0,1,0] op_sel_hi:[0,0,1] neg_lo:[1,0,0] neg_hi:[1,0,0]
	v_div_fixup_f32 v16, v3, v16, 1.0
	v_mov_b32_e32 v23, v15
	v_pk_mul_f32 v[18:19], v[16:17], v[22:23] op_sel_hi:[0,1]
.LBB13_57:                              ;   in Loop: Header=BB13_52 Depth=2
	s_or_b64 exec, exec, s[36:37]
	ds_write_b64 v20, v[18:19]
.LBB13_58:                              ;   in Loop: Header=BB13_52 Depth=2
	s_or_b64 exec, exec, s[34:35]
	v_cmp_lt_u32_e32 vcc, s38, v0
	s_waitcnt lgkmcnt(0)
	s_barrier
	s_and_saveexec_b64 s[34:35], vcc
	s_cbranch_execz .LBB13_51
; %bb.59:                               ;   in Loop: Header=BB13_52 Depth=2
	s_add_i32 s36, s12, s38
	s_cmp_lt_i32 s36, s13
	s_cselect_b64 s[36:37], -1, 0
	s_and_b64 s[36:37], s[30:31], s[36:37]
	s_and_b64 exec, exec, s[36:37]
	s_cbranch_execz .LBB13_51
; %bb.60:                               ;   in Loop: Header=BB13_52 Depth=2
	flat_load_dwordx2 v[14:15], v[10:11]
	v_mov_b32_e32 v3, s33
	ds_read_b64 v[16:17], v3
	ds_read_b64 v[18:19], v20
	s_waitcnt vmcnt(0) lgkmcnt(0)
	v_pk_mul_f32 v[22:23], v[16:17], v[14:15] op_sel:[1,1] op_sel_hi:[0,1]
	v_pk_fma_f32 v[24:25], v[16:17], v[14:15], v[22:23] neg_lo:[0,0,1] neg_hi:[0,0,1]
	v_pk_fma_f32 v[14:15], v[16:17], v[14:15], v[22:23] op_sel_hi:[1,0,1]
	s_nop 0
	v_mov_b32_e32 v25, v15
	v_pk_add_f32 v[14:15], v[18:19], v[24:25] neg_lo:[0,1] neg_hi:[0,1]
	ds_write_b64 v20, v[14:15]
	s_branch .LBB13_51
.LBB13_61:                              ;   in Loop: Header=BB13_48 Depth=1
	s_add_i32 s33, s12, 0x200
	s_cmp_ge_i32 s33, s13
	s_cselect_b64 s[2:3], -1, 0
	s_and_b64 vcc, exec, s[2:3]
	s_waitcnt lgkmcnt(0)
	s_barrier
	s_cbranch_vccnz .LBB13_89
; %bb.62:                               ;   in Loop: Header=BB13_48 Depth=1
	s_mov_b64 s[30:31], 0
	v_mov_b32_e32 v16, v1
	v_mov_b64_e32 v[10:11], v[6:7]
	v_mov_b32_e32 v17, v0
	s_mov_b32 s40, s33
                                        ; implicit-def: $sgpr34_sgpr35
	s_branch .LBB13_65
.LBB13_63:                              ;   in Loop: Header=BB13_65 Depth=2
	v_mad_u64_u32 v[14:15], s[38:39], s6, v18, 0
	v_mov_b32_e32 v22, v15
	v_mad_u64_u32 v[18:19], s[38:39], s7, v18, v[22:23]
	v_mov_b32_e32 v15, v18
	v_lshl_add_u64 v[14:15], v[14:15], 3, s[4:5]
	flat_load_dwordx2 v[18:19], v[14:15]
	s_addk_i32 s40, 0x200
	s_cmp_ge_i32 s40, s13
	s_cselect_b64 s[38:39], -1, 0
	s_andn2_b64 s[34:35], s[34:35], exec
	s_and_b64 s[38:39], s[38:39], exec
	v_lshl_add_u64 v[10:11], v[10:11], 0, s[24:25]
	v_add_u32_e32 v16, 0x200, v16
	s_or_b64 s[34:35], s[34:35], s[38:39]
	s_waitcnt vmcnt(0) lgkmcnt(0)
	v_pk_add_f32 v[12:13], v[18:19], v[12:13] neg_lo:[0,1] neg_hi:[0,1]
	flat_store_dwordx2 v[14:15], v[12:13]
.LBB13_64:                              ;   in Loop: Header=BB13_65 Depth=2
	s_or_b64 exec, exec, s[36:37]
	s_and_b64 s[36:37], exec, s[34:35]
	s_or_b64 s[30:31], s[36:37], s[30:31]
	s_andn2_b64 exec, exec, s[30:31]
	s_cbranch_execz .LBB13_88
.LBB13_65:                              ;   Parent Loop BB13_48 Depth=1
                                        ; =>  This Loop Header: Depth=2
                                        ;       Child Loop BB13_68 Depth 3
	v_add_u32_e32 v18, s40, v0
	v_cmp_gt_i32_e32 vcc, s13, v18
	s_or_b64 s[34:35], s[34:35], exec
	s_and_saveexec_b64 s[36:37], vcc
	s_cbranch_execz .LBB13_64
; %bb.66:                               ;   in Loop: Header=BB13_65 Depth=2
	v_mad_u64_u32 v[12:13], s[38:39], v10, v16, 0
	v_mov_b32_e32 v14, v13
	v_mad_u64_u32 v[14:15], s[38:39], v11, v16, v[14:15]
	v_mov_b32_e32 v13, v14
	v_lshlrev_b64 v[12:13], 2, v[12:13]
	v_and_b32_e32 v12, -8, v12
	v_mov_b32_e32 v3, v2
	v_lshl_add_u64 v[14:15], s[28:29], 0, v[12:13]
	v_add_u32_e32 v19, 0x1fd, v17
	v_add_u32_e32 v22, 0x1fe, v17
	;; [unrolled: 1-line block ×4, first 2 shown]
	s_mov_b32 s41, 0
	s_mov_b32 s42, 0
	v_mov_b64_e32 v[12:13], v[2:3]
	s_branch .LBB13_68
.LBB13_67:                              ;   in Loop: Header=BB13_68 Depth=3
	s_or_b64 exec, exec, s[38:39]
	s_add_i32 s42, s42, 4
	s_add_i32 s41, s41, 32
	s_cmpk_eq_i32 s42, 0x200
	v_lshl_add_u64 v[14:15], v[14:15], 0, 32
	s_cbranch_scc1 .LBB13_63
.LBB13_68:                              ;   Parent Loop BB13_48 Depth=1
                                        ;     Parent Loop BB13_65 Depth=2
                                        ; =>    This Inner Loop Header: Depth=3
	v_cmp_ne_u32_e32 vcc, s42, v17
	s_add_i32 s43, s12, s42
	s_or_b64 s[38:39], s[22:23], vcc
	s_and_saveexec_b64 s[44:45], s[38:39]
	s_xor_b64 s[38:39], exec, s[44:45]
	s_cbranch_execz .LBB13_71
; %bb.69:                               ;   in Loop: Header=BB13_68 Depth=3
	s_cmp_ge_i32 s43, s13
	s_cbranch_scc1 .LBB13_71
; %bb.70:                               ;   in Loop: Header=BB13_68 Depth=3
	flat_load_dwordx2 v[24:25], v[14:15]
	v_mov_b32_e32 v3, s41
	ds_read_b64 v[26:27], v3
	s_waitcnt vmcnt(0) lgkmcnt(0)
	v_pk_mul_f32 v[28:29], v[26:27], v[24:25] op_sel:[1,1] op_sel_hi:[0,1]
	v_pk_fma_f32 v[30:31], v[26:27], v[24:25], v[28:29] neg_lo:[0,0,1] neg_hi:[0,0,1]
	v_pk_fma_f32 v[24:25], v[26:27], v[24:25], v[28:29] op_sel_hi:[1,0,1]
	s_nop 0
	v_mov_b32_e32 v31, v25
	v_pk_add_f32 v[12:13], v[12:13], v[30:31]
.LBB13_71:                              ;   in Loop: Header=BB13_68 Depth=3
	s_andn2_saveexec_b64 s[38:39], s[38:39]
	s_cbranch_execz .LBB13_73
; %bb.72:                               ;   in Loop: Header=BB13_68 Depth=3
	v_mov_b32_e32 v3, s41
	ds_read_b64 v[24:25], v3
	s_waitcnt lgkmcnt(0)
	v_pk_add_f32 v[12:13], v[12:13], v[24:25]
.LBB13_73:                              ;   in Loop: Header=BB13_68 Depth=3
	s_or_b64 exec, exec, s[38:39]
	v_cmp_ne_u32_e32 vcc, s42, v23
	s_or_b64 s[38:39], s[22:23], vcc
	s_and_saveexec_b64 s[44:45], s[38:39]
	s_xor_b64 s[38:39], exec, s[44:45]
	s_cbranch_execz .LBB13_76
; %bb.74:                               ;   in Loop: Header=BB13_68 Depth=3
	s_add_i32 s44, s43, 1
	s_cmp_ge_i32 s44, s13
	s_cbranch_scc1 .LBB13_76
; %bb.75:                               ;   in Loop: Header=BB13_68 Depth=3
	flat_load_dwordx2 v[24:25], v[14:15] offset:8
	v_mov_b32_e32 v3, s41
	ds_read_b64 v[26:27], v3 offset:8
	s_waitcnt vmcnt(0) lgkmcnt(0)
	v_pk_mul_f32 v[28:29], v[26:27], v[24:25] op_sel:[1,1] op_sel_hi:[0,1]
	v_pk_fma_f32 v[30:31], v[26:27], v[24:25], v[28:29] neg_lo:[0,0,1] neg_hi:[0,0,1]
	v_pk_fma_f32 v[24:25], v[26:27], v[24:25], v[28:29] op_sel_hi:[1,0,1]
	s_nop 0
	v_mov_b32_e32 v31, v25
	v_pk_add_f32 v[12:13], v[12:13], v[30:31]
.LBB13_76:                              ;   in Loop: Header=BB13_68 Depth=3
	s_andn2_saveexec_b64 s[38:39], s[38:39]
	s_cbranch_execz .LBB13_78
; %bb.77:                               ;   in Loop: Header=BB13_68 Depth=3
	v_mov_b32_e32 v3, s41
	ds_read_b64 v[24:25], v3 offset:8
	s_waitcnt lgkmcnt(0)
	v_pk_add_f32 v[12:13], v[12:13], v[24:25]
.LBB13_78:                              ;   in Loop: Header=BB13_68 Depth=3
	s_or_b64 exec, exec, s[38:39]
	v_cmp_ne_u32_e32 vcc, s42, v22
	s_or_b64 s[38:39], s[22:23], vcc
	s_and_saveexec_b64 s[44:45], s[38:39]
	s_xor_b64 s[38:39], exec, s[44:45]
	s_cbranch_execz .LBB13_81
; %bb.79:                               ;   in Loop: Header=BB13_68 Depth=3
	s_add_i32 s44, s43, 2
	s_cmp_ge_i32 s44, s13
	s_cbranch_scc1 .LBB13_81
; %bb.80:                               ;   in Loop: Header=BB13_68 Depth=3
	flat_load_dwordx2 v[24:25], v[14:15] offset:16
	v_mov_b32_e32 v3, s41
	ds_read_b64 v[26:27], v3 offset:16
	s_waitcnt vmcnt(0) lgkmcnt(0)
	v_pk_mul_f32 v[28:29], v[26:27], v[24:25] op_sel:[1,1] op_sel_hi:[0,1]
	v_pk_fma_f32 v[30:31], v[26:27], v[24:25], v[28:29] neg_lo:[0,0,1] neg_hi:[0,0,1]
	v_pk_fma_f32 v[24:25], v[26:27], v[24:25], v[28:29] op_sel_hi:[1,0,1]
	s_nop 0
	v_mov_b32_e32 v31, v25
	v_pk_add_f32 v[12:13], v[12:13], v[30:31]
.LBB13_81:                              ;   in Loop: Header=BB13_68 Depth=3
	s_andn2_saveexec_b64 s[38:39], s[38:39]
	s_cbranch_execz .LBB13_83
; %bb.82:                               ;   in Loop: Header=BB13_68 Depth=3
	v_mov_b32_e32 v3, s41
	ds_read_b64 v[24:25], v3 offset:16
	s_waitcnt lgkmcnt(0)
	v_pk_add_f32 v[12:13], v[12:13], v[24:25]
.LBB13_83:                              ;   in Loop: Header=BB13_68 Depth=3
	s_or_b64 exec, exec, s[38:39]
	v_cmp_ne_u32_e32 vcc, s42, v19
	s_or_b64 s[38:39], s[22:23], vcc
	s_and_saveexec_b64 s[44:45], s[38:39]
	s_xor_b64 s[38:39], exec, s[44:45]
	s_cbranch_execz .LBB13_86
; %bb.84:                               ;   in Loop: Header=BB13_68 Depth=3
	s_add_i32 s43, s43, 3
	s_cmp_ge_i32 s43, s13
	s_cbranch_scc1 .LBB13_86
; %bb.85:                               ;   in Loop: Header=BB13_68 Depth=3
	flat_load_dwordx2 v[24:25], v[14:15] offset:24
	v_mov_b32_e32 v3, s41
	ds_read_b64 v[26:27], v3 offset:24
	s_waitcnt vmcnt(0) lgkmcnt(0)
	v_pk_mul_f32 v[28:29], v[26:27], v[24:25] op_sel:[1,1] op_sel_hi:[0,1]
	v_pk_fma_f32 v[30:31], v[26:27], v[24:25], v[28:29] neg_lo:[0,0,1] neg_hi:[0,0,1]
	v_pk_fma_f32 v[24:25], v[26:27], v[24:25], v[28:29] op_sel_hi:[1,0,1]
	s_nop 0
	v_mov_b32_e32 v31, v25
	v_pk_add_f32 v[12:13], v[12:13], v[30:31]
.LBB13_86:                              ;   in Loop: Header=BB13_68 Depth=3
	s_andn2_saveexec_b64 s[38:39], s[38:39]
	s_cbranch_execz .LBB13_67
; %bb.87:                               ;   in Loop: Header=BB13_68 Depth=3
	v_mov_b32_e32 v3, s41
	ds_read_b64 v[24:25], v3 offset:24
	s_waitcnt lgkmcnt(0)
	v_pk_add_f32 v[12:13], v[12:13], v[24:25]
	s_branch .LBB13_67
.LBB13_88:                              ;   in Loop: Header=BB13_48 Depth=1
	s_or_b64 exec, exec, s[30:31]
.LBB13_89:                              ;   in Loop: Header=BB13_48 Depth=1
	s_and_saveexec_b64 s[30:31], s[0:1]
	s_cbranch_execz .LBB13_47
; %bb.90:                               ;   in Loop: Header=BB13_48 Depth=1
	v_mad_u64_u32 v[10:11], s[0:1], s6, v21, 0
	ds_read_b64 v[14:15], v20
	v_mov_b32_e32 v12, v11
	v_mad_u64_u32 v[12:13], s[0:1], s7, v21, v[12:13]
	v_mov_b32_e32 v11, v12
	v_lshl_add_u64 v[10:11], v[10:11], 3, s[4:5]
	s_waitcnt lgkmcnt(0)
	flat_store_dwordx2 v[10:11], v[14:15]
	s_branch .LBB13_47
.LBB13_91:
	s_mov_b64 s[0:1], 0
.LBB13_92:
	s_andn2_b64 vcc, exec, s[0:1]
	s_cbranch_vccnz .LBB13_166
; %bb.93:
	s_mov_b64 s[0:1], -1
	s_and_b64 vcc, exec, s[20:21]
	s_cbranch_vccz .LBB13_132
; %bb.94:
	s_andn2_b64 vcc, exec, s[14:15]
	s_cbranch_vccnz .LBB13_131
; %bb.95:
	s_lshl_b32 s20, s13, 1
	s_or_b32 s12, s20, 1
	s_ashr_i32 s21, s20, 31
	s_add_u32 s16, s16, s18
	s_addc_u32 s17, s17, s19
	s_lshl_b64 s[0:1], s[20:21], 9
	s_add_u32 s42, s0, 0xfffc0200
	s_addc_u32 s43, s1, -1
	s_add_u32 s38, s0, 0xfffbfe00
	s_addc_u32 s39, s1, -1
	s_lshl_b64 s[0:1], s[20:21], 1
	s_add_u32 s18, s0, -6
	v_mov_b32_e32 v4, 0
	s_addc_u32 s19, s1, -1
	v_lshlrev_b32_e32 v2, 3, v0
	v_mov_b32_e32 v3, v4
	s_add_u32 s22, s0, -2
	v_mov_b32_e32 v1, v4
	v_lshl_add_u64 v[6:7], s[16:17], 0, v[2:3]
	v_or_b32_e32 v8, 0x200, v0
	s_addc_u32 s23, s1, -1
	s_mov_b64 s[24:25], -1
	s_mov_b64 s[26:27], 0
	s_mov_b64 s[28:29], 0x200
	;; [unrolled: 1-line block ×7, first 2 shown]
	s_branch .LBB13_97
.LBB13_96:                              ;   in Loop: Header=BB13_97 Depth=1
	s_or_b64 exec, exec, s[44:45]
	s_add_u32 s0, s42, 0xfff80000
	s_addc_u32 s1, s43, -1
	s_add_u32 s26, s26, s42
	s_addc_u32 s27, s27, s43
	s_add_u32 s40, s40, 0xfffffc00
	s_addc_u32 s41, s41, -1
	s_add_u32 s24, s24, 0xfffffe00
	s_addc_u32 s25, s25, -1
	;; [unrolled: 2-line block ×3, first 2 shown]
	s_add_u32 s20, s20, s38
	s_addc_u32 s21, s21, s39
	s_add_u32 s18, s18, 0xfffff800
	s_addc_u32 s19, s19, -1
	s_add_u32 s36, s36, 0xfffffe00
	s_addc_u32 s37, s37, -1
	s_add_u32 s22, s22, 0xfffff800
	v_add_u32_e32 v8, 0x200, v8
	s_addc_u32 s23, s23, -1
	s_and_b64 vcc, exec, s[46:47]
	s_mov_b64 s[38:39], s[42:43]
	s_mov_b64 s[42:43], s[0:1]
	;; [unrolled: 1-line block ×3, first 2 shown]
	s_waitcnt lgkmcnt(0)
	s_barrier
	s_cbranch_vccnz .LBB13_131
.LBB13_97:                              ; =>This Loop Header: Depth=1
                                        ;     Child Loop BB13_101 Depth 2
                                        ;     Child Loop BB13_114 Depth 2
                                        ;       Child Loop BB13_116 Depth 3
	v_add_u32_e32 v3, s44, v0
	v_cmp_le_i32_e32 vcc, s13, v3
	v_cmp_gt_i32_e64 s[0:1], s13, v3
	s_and_saveexec_b64 s[2:3], s[0:1]
	s_cbranch_execz .LBB13_99
; %bb.98:                               ;   in Loop: Header=BB13_97 Depth=1
	v_mad_u64_u32 v[10:11], s[46:47], s6, v3, 0
	v_mov_b32_e32 v12, v11
	v_mad_u64_u32 v[12:13], s[46:47], s7, v3, v[12:13]
	v_mov_b32_e32 v11, v12
	v_lshl_add_u64 v[10:11], v[10:11], 3, s[4:5]
	flat_load_dwordx2 v[10:11], v[10:11]
	s_waitcnt vmcnt(0) lgkmcnt(0)
	ds_write_b64 v2, v[10:11]
.LBB13_99:                              ;   in Loop: Header=BB13_97 Depth=1
	s_or_b64 exec, exec, s[2:3]
	v_or_b32_e32 v5, s44, v0
	v_sub_u32_e32 v9, s12, v5
	v_mad_u64_u32 v[10:11], s[46:47], v9, v5, 0
	v_ashrrev_i32_e32 v13, 31, v9
	v_mov_b32_e32 v12, v11
	v_mad_u64_u32 v[12:13], s[46:47], v13, v5, v[12:13]
	v_mov_b32_e32 v11, v12
	v_lshlrev_b64 v[10:11], 2, v[10:11]
	v_and_b32_e32 v10, -8, v10
	v_cmp_le_i32_e64 s[2:3], s13, v5
	v_lshl_add_u64 v[10:11], s[10:11], 0, v[10:11]
	s_mov_b64 s[46:47], 0
	s_mov_b32 s33, 0
	s_xor_b64 s[48:49], vcc, -1
	s_mov_b64 s[50:51], s[26:27]
	s_mov_b64 s[52:53], s[40:41]
	v_mov_b64_e32 v[12:13], v[6:7]
	s_waitcnt lgkmcnt(0)
	s_barrier
	s_branch .LBB13_101
.LBB13_100:                             ;   in Loop: Header=BB13_101 Depth=2
	s_or_b64 exec, exec, s[54:55]
	s_add_u32 s46, s46, 1
	s_addc_u32 s47, s47, 0
	s_add_u32 s54, s52, -2
	s_addc_u32 s55, s53, -1
	s_add_u32 s50, s50, s52
	s_addc_u32 s51, s51, s53
	s_add_i32 s33, s33, 8
	v_lshl_add_u64 v[12:13], v[12:13], 0, -8
	s_cmpk_eq_i32 s46, 0x200
	s_mov_b64 s[52:53], s[54:55]
	s_cbranch_scc1 .LBB13_110
.LBB13_101:                             ;   Parent Loop BB13_97 Depth=1
                                        ; =>  This Inner Loop Header: Depth=2
	v_cmp_ne_u32_e32 vcc, s46, v0
	s_or_b64 s[54:55], s[8:9], vcc
	s_nor_b64 s[56:57], s[54:55], s[2:3]
	s_and_saveexec_b64 s[54:55], s[56:57]
	s_cbranch_execz .LBB13_107
; %bb.102:                              ;   in Loop: Header=BB13_101 Depth=2
	flat_load_dwordx2 v[16:17], v[10:11]
	ds_read_b64 v[14:15], v2
                                        ; implicit-def: $vgpr18_vgpr19
	s_waitcnt vmcnt(0) lgkmcnt(0)
	v_cmp_ngt_f32_e64 s[56:57], |v16|, |v17|
	s_and_saveexec_b64 s[58:59], s[56:57]
	s_xor_b64 s[56:57], exec, s[58:59]
	s_cbranch_execz .LBB13_104
; %bb.103:                              ;   in Loop: Header=BB13_101 Depth=2
	v_div_scale_f32 v5, s[58:59], v17, v17, v16
	v_rcp_f32_e32 v9, v5
	v_div_scale_f32 v18, vcc, v16, v17, v16
	v_fma_f32 v19, -v5, v9, 1.0
	v_fmac_f32_e32 v9, v19, v9
	v_mul_f32_e32 v19, v18, v9
	v_fma_f32 v20, -v5, v19, v18
	v_fmac_f32_e32 v19, v20, v9
	v_fma_f32 v5, -v5, v19, v18
	v_div_fmas_f32 v5, v5, v9, v19
	v_div_fixup_f32 v18, v5, v17, v16
	v_fmac_f32_e32 v17, v16, v18
	v_div_scale_f32 v5, s[58:59], v17, v17, 1.0
	v_rcp_f32_e32 v9, v5
	s_nop 0
	v_fma_f32 v16, -v5, v9, 1.0
	v_fmac_f32_e32 v9, v16, v9
	v_div_scale_f32 v16, vcc, 1.0, v17, 1.0
	v_mul_f32_e32 v19, v16, v9
	v_fma_f32 v20, -v5, v19, v16
	v_fmac_f32_e32 v19, v20, v9
	v_fma_f32 v5, -v5, v19, v16
	v_div_fmas_f32 v5, v5, v9, v19
	v_pk_fma_f32 v[20:21], v[18:19], v[14:15], v[14:15] op_sel:[0,0,1] op_sel_hi:[1,1,0]
	v_pk_fma_f32 v[14:15], v[18:19], v[14:15], v[14:15] op_sel:[0,0,1] op_sel_hi:[0,1,0] neg_lo:[0,0,1] neg_hi:[0,0,1]
	v_div_fixup_f32 v16, v5, v17, 1.0
	v_mov_b32_e32 v21, v15
	v_pk_mul_f32 v[18:19], v[16:17], v[20:21] op_sel_hi:[0,1]
                                        ; implicit-def: $vgpr16_vgpr17
                                        ; implicit-def: $vgpr14_vgpr15
.LBB13_104:                             ;   in Loop: Header=BB13_101 Depth=2
	s_andn2_saveexec_b64 s[56:57], s[56:57]
	s_cbranch_execz .LBB13_106
; %bb.105:                              ;   in Loop: Header=BB13_101 Depth=2
	v_div_scale_f32 v5, s[58:59], v16, v16, v17
	v_rcp_f32_e32 v9, v5
	v_div_scale_f32 v18, vcc, v17, v16, v17
	v_fma_f32 v19, -v5, v9, 1.0
	v_fmac_f32_e32 v9, v19, v9
	v_mul_f32_e32 v19, v18, v9
	v_fma_f32 v20, -v5, v19, v18
	v_fmac_f32_e32 v19, v20, v9
	v_fma_f32 v5, -v5, v19, v18
	v_div_fmas_f32 v5, v5, v9, v19
	v_div_fixup_f32 v18, v5, v16, v17
	v_fmac_f32_e32 v16, v17, v18
	v_div_scale_f32 v5, s[58:59], v16, v16, 1.0
	v_rcp_f32_e32 v9, v5
	s_nop 0
	v_fma_f32 v17, -v5, v9, 1.0
	v_fmac_f32_e32 v9, v17, v9
	v_div_scale_f32 v17, vcc, 1.0, v16, 1.0
	v_mul_f32_e32 v19, v17, v9
	v_fma_f32 v20, -v5, v19, v17
	v_fmac_f32_e32 v19, v20, v9
	v_fma_f32 v5, -v5, v19, v17
	v_div_fmas_f32 v5, v5, v9, v19
	v_pk_fma_f32 v[20:21], v[18:19], v[14:15], v[14:15] op_sel:[0,1,0] op_sel_hi:[1,0,1]
	v_pk_fma_f32 v[14:15], v[18:19], v[14:15], v[14:15] op_sel:[0,1,0] op_sel_hi:[0,0,1] neg_lo:[1,0,0] neg_hi:[1,0,0]
	v_div_fixup_f32 v16, v5, v16, 1.0
	v_mov_b32_e32 v21, v15
	v_pk_mul_f32 v[18:19], v[16:17], v[20:21] op_sel_hi:[0,1]
.LBB13_106:                             ;   in Loop: Header=BB13_101 Depth=2
	s_or_b64 exec, exec, s[56:57]
	ds_write_b64 v2, v[18:19]
.LBB13_107:                             ;   in Loop: Header=BB13_101 Depth=2
	s_or_b64 exec, exec, s[54:55]
	v_cmp_lt_u32_e32 vcc, s46, v0
	s_waitcnt lgkmcnt(0)
	s_barrier
	s_and_saveexec_b64 s[54:55], vcc
	s_cbranch_execz .LBB13_100
; %bb.108:                              ;   in Loop: Header=BB13_101 Depth=2
	s_add_i32 s56, s44, s46
	s_cmp_lt_i32 s56, s13
	s_cselect_b64 s[56:57], -1, 0
	s_and_b64 s[56:57], s[48:49], s[56:57]
	s_and_b64 exec, exec, s[56:57]
	s_cbranch_execz .LBB13_100
; %bb.109:                              ;   in Loop: Header=BB13_101 Depth=2
	s_lshl_b64 s[56:57], s[50:51], 2
	s_and_b32 s56, s56, -8
	v_lshl_add_u64 v[14:15], v[12:13], 0, s[56:57]
	flat_load_dwordx2 v[14:15], v[14:15]
	v_mov_b32_e32 v5, s33
	ds_read_b64 v[16:17], v5
	ds_read_b64 v[18:19], v2
	s_waitcnt vmcnt(0) lgkmcnt(0)
	v_pk_mul_f32 v[20:21], v[16:17], v[14:15] op_sel:[1,1] op_sel_hi:[0,1]
	v_pk_fma_f32 v[22:23], v[16:17], v[14:15], v[20:21] neg_lo:[0,0,1] neg_hi:[0,0,1]
	v_pk_fma_f32 v[14:15], v[16:17], v[14:15], v[20:21] op_sel_hi:[1,0,1]
	s_nop 0
	v_mov_b32_e32 v23, v15
	v_pk_add_f32 v[14:15], v[18:19], v[22:23] neg_lo:[0,1] neg_hi:[0,1]
	ds_write_b64 v2, v[14:15]
	s_branch .LBB13_100
.LBB13_110:                             ;   in Loop: Header=BB13_97 Depth=1
	s_add_u32 s2, s44, 0x200
	s_addc_u32 s3, s45, 0
	s_cmp_ge_i32 s2, s13
	s_cselect_b64 s[46:47], -1, 0
	s_and_b64 vcc, exec, s[46:47]
	s_waitcnt lgkmcnt(0)
	s_barrier
	s_cbranch_vccnz .LBB13_129
; %bb.111:                              ;   in Loop: Header=BB13_97 Depth=1
	v_ashrrev_i32_e32 v9, 31, v8
	v_lshl_add_u64 v[10:11], s[24:25], 0, v[8:9]
	v_lshl_add_u64 v[12:13], s[36:37], 0, v[8:9]
	s_mov_b32 s33, s2
	v_lshl_add_u64 v[10:11], v[10:11], 3, s[16:17]
	v_lshl_add_u64 v[12:13], v[12:13], 3, s[16:17]
	s_mov_b64 s[48:49], 0
	v_mov_b64_e32 v[14:15], v[0:1]
                                        ; implicit-def: $sgpr50_sgpr51
	s_branch .LBB13_114
.LBB13_112:                             ;   in Loop: Header=BB13_114 Depth=2
	v_mad_u64_u32 v[18:19], s[54:55], s6, v9, 0
	v_mov_b32_e32 v20, v19
	v_mad_u64_u32 v[20:21], s[54:55], s7, v9, v[20:21]
	v_mov_b32_e32 v19, v20
	v_lshl_add_u64 v[18:19], v[18:19], 3, s[4:5]
	flat_load_dwordx2 v[20:21], v[18:19]
	s_addk_i32 s33, 0x200
	s_cmp_ge_i32 s33, s13
	s_cselect_b64 s[54:55], -1, 0
	s_andn2_b64 s[50:51], s[50:51], exec
	s_and_b64 s[54:55], s[54:55], exec
	v_lshl_add_u64 v[10:11], v[10:11], 0, s[34:35]
	v_lshl_add_u64 v[12:13], v[12:13], 0, s[34:35]
	s_or_b64 s[50:51], s[50:51], s[54:55]
	s_waitcnt vmcnt(0) lgkmcnt(0)
	v_pk_add_f32 v[16:17], v[20:21], v[16:17] neg_lo:[0,1] neg_hi:[0,1]
	flat_store_dwordx2 v[18:19], v[16:17]
.LBB13_113:                             ;   in Loop: Header=BB13_114 Depth=2
	s_or_b64 exec, exec, s[52:53]
	s_and_b64 s[52:53], exec, s[50:51]
	s_or_b64 s[48:49], s[52:53], s[48:49]
	s_andn2_b64 exec, exec, s[48:49]
	s_cbranch_execz .LBB13_128
.LBB13_114:                             ;   Parent Loop BB13_97 Depth=1
                                        ; =>  This Loop Header: Depth=2
                                        ;       Child Loop BB13_116 Depth 3
	v_add_u32_e32 v9, s33, v0
	v_cmp_gt_i32_e32 vcc, s13, v9
	s_or_b64 s[50:51], s[50:51], exec
	s_and_saveexec_b64 s[52:53], vcc
	s_cbranch_execz .LBB13_113
; %bb.115:                              ;   in Loop: Header=BB13_114 Depth=2
	v_mov_b32_e32 v5, v4
	v_lshl_add_u64 v[18:19], v[14:15], 0, s[30:31]
	v_lshl_add_u64 v[14:15], v[14:15], 0, s[28:29]
	s_mov_b64 s[54:55], 0
	s_mov_b32 s45, 0
	s_mov_b64 s[56:57], s[26:27]
	s_mov_b64 s[60:61], s[22:23]
	v_mov_b64_e32 v[20:21], v[12:13]
	s_mov_b64 s[58:59], s[20:21]
	s_mov_b64 s[62:63], s[18:19]
	v_mov_b64_e32 v[22:23], v[10:11]
	v_mov_b64_e32 v[16:17], v[4:5]
.LBB13_116:                             ;   Parent Loop BB13_97 Depth=1
                                        ;     Parent Loop BB13_114 Depth=2
                                        ; =>    This Inner Loop Header: Depth=3
	v_cmp_ne_u32_e32 vcc, s54, v14
	s_xor_b64 s[64:65], s[8:9], -1
	s_add_u32 s68, s44, s54
	s_or_b64 s[66:67], s[64:65], vcc
	s_and_saveexec_b64 s[70:71], s[66:67]
	s_xor_b64 s[66:67], exec, s[70:71]
	s_cbranch_execz .LBB13_119
; %bb.117:                              ;   in Loop: Header=BB13_116 Depth=3
	s_cmp_ge_i32 s68, s13
	s_cbranch_scc1 .LBB13_119
; %bb.118:                              ;   in Loop: Header=BB13_116 Depth=3
	s_lshl_b64 s[70:71], s[56:57], 2
	s_and_b32 s70, s70, -8
	v_lshl_add_u64 v[24:25], v[20:21], 0, s[70:71]
	flat_load_dwordx2 v[24:25], v[24:25]
	v_mov_b32_e32 v5, s45
	ds_read_b64 v[26:27], v5
	s_waitcnt vmcnt(0) lgkmcnt(0)
	v_pk_mul_f32 v[28:29], v[26:27], v[24:25] op_sel:[1,1] op_sel_hi:[0,1]
	v_pk_fma_f32 v[30:31], v[26:27], v[24:25], v[28:29] neg_lo:[0,0,1] neg_hi:[0,0,1]
	v_pk_fma_f32 v[24:25], v[26:27], v[24:25], v[28:29] op_sel_hi:[1,0,1]
	s_nop 0
	v_mov_b32_e32 v31, v25
	v_pk_add_f32 v[16:17], v[16:17], v[30:31]
.LBB13_119:                             ;   in Loop: Header=BB13_116 Depth=3
	s_andn2_saveexec_b64 s[66:67], s[66:67]
	s_cbranch_execz .LBB13_121
; %bb.120:                              ;   in Loop: Header=BB13_116 Depth=3
	v_mov_b32_e32 v5, s45
	ds_read_b64 v[24:25], v5
	s_waitcnt lgkmcnt(0)
	v_pk_add_f32 v[16:17], v[16:17], v[24:25]
.LBB13_121:                             ;   in Loop: Header=BB13_116 Depth=3
	s_or_b64 exec, exec, s[66:67]
	v_cmp_ne_u32_e32 vcc, s54, v18
	s_or_b64 s[64:65], s[64:65], vcc
	s_and_saveexec_b64 s[66:67], s[64:65]
	s_xor_b64 s[64:65], exec, s[66:67]
	s_cbranch_execz .LBB13_124
; %bb.122:                              ;   in Loop: Header=BB13_116 Depth=3
	s_add_i32 s68, s68, 1
	s_cmp_ge_i32 s68, s13
	s_cbranch_scc1 .LBB13_124
; %bb.123:                              ;   in Loop: Header=BB13_116 Depth=3
	s_lshl_b64 s[66:67], s[58:59], 2
	s_and_b32 s66, s66, -8
	v_lshl_add_u64 v[24:25], v[22:23], 0, s[66:67]
	flat_load_dwordx2 v[24:25], v[24:25]
	v_mov_b32_e32 v5, s45
	ds_read_b64 v[26:27], v5 offset:8
	s_waitcnt vmcnt(0) lgkmcnt(0)
	v_pk_mul_f32 v[28:29], v[26:27], v[24:25] op_sel:[1,1] op_sel_hi:[0,1]
	v_pk_fma_f32 v[30:31], v[26:27], v[24:25], v[28:29] neg_lo:[0,0,1] neg_hi:[0,0,1]
	v_pk_fma_f32 v[24:25], v[26:27], v[24:25], v[28:29] op_sel_hi:[1,0,1]
	s_nop 0
	v_mov_b32_e32 v31, v25
	v_pk_add_f32 v[16:17], v[16:17], v[30:31]
.LBB13_124:                             ;   in Loop: Header=BB13_116 Depth=3
	s_andn2_saveexec_b64 s[64:65], s[64:65]
	s_cbranch_execz .LBB13_126
; %bb.125:                              ;   in Loop: Header=BB13_116 Depth=3
	v_mov_b32_e32 v5, s45
	ds_read_b64 v[24:25], v5 offset:8
	s_waitcnt lgkmcnt(0)
	v_pk_add_f32 v[16:17], v[16:17], v[24:25]
.LBB13_126:                             ;   in Loop: Header=BB13_116 Depth=3
	s_or_b64 exec, exec, s[64:65]
	s_add_u32 s54, s54, 2
	s_addc_u32 s55, s55, 0
	s_add_u32 s64, s62, -8
	s_addc_u32 s65, s63, -1
	s_add_u32 s58, s58, s62
	s_addc_u32 s59, s59, s63
	s_add_i32 s45, s45, 16
	s_add_u32 s62, s60, -8
	s_addc_u32 s63, s61, -1
	s_add_u32 s56, s56, s60
	s_addc_u32 s57, s57, s61
	v_lshl_add_u64 v[22:23], v[22:23], 0, -16
	s_cmpk_eq_i32 s54, 0x200
	v_lshl_add_u64 v[20:21], v[20:21], 0, -16
	s_cbranch_scc1 .LBB13_112
; %bb.127:                              ;   in Loop: Header=BB13_116 Depth=3
	s_mov_b64 s[60:61], s[62:63]
	s_mov_b64 s[62:63], s[64:65]
	s_branch .LBB13_116
.LBB13_128:                             ;   in Loop: Header=BB13_97 Depth=1
	s_or_b64 exec, exec, s[48:49]
.LBB13_129:                             ;   in Loop: Header=BB13_97 Depth=1
	s_and_saveexec_b64 s[44:45], s[0:1]
	s_cbranch_execz .LBB13_96
; %bb.130:                              ;   in Loop: Header=BB13_97 Depth=1
	v_mad_u64_u32 v[10:11], s[0:1], s6, v3, 0
	ds_read_b64 v[14:15], v2
	v_mov_b32_e32 v12, v11
	v_mad_u64_u32 v[12:13], s[0:1], s7, v3, v[12:13]
	v_mov_b32_e32 v11, v12
	v_lshl_add_u64 v[10:11], v[10:11], 3, s[4:5]
	s_waitcnt lgkmcnt(0)
	flat_store_dwordx2 v[10:11], v[14:15]
	s_branch .LBB13_96
.LBB13_131:
	s_mov_b64 s[0:1], 0
.LBB13_132:
	s_andn2_b64 vcc, exec, s[0:1]
	s_cbranch_vccnz .LBB13_166
; %bb.133:
	s_andn2_b64 vcc, exec, s[14:15]
	s_cbranch_vccnz .LBB13_166
; %bb.134:
	v_mov_b32_e32 v1, 0x1000
	v_mov_b32_e32 v3, 0
	s_movk_i32 s18, 0xfe00
	s_add_i32 s37, s13, 0xfffffe00
	v_lshl_or_b32 v22, v0, 3, v1
	s_mov_b32 s33, 0
	s_mov_b32 s36, s13
	v_mov_b32_e32 v1, v3
	s_mov_b64 s[12:13], 0xfffffdff
	s_mov_b64 s[14:15], 0xfffffe00
	s_xor_b64 s[16:17], s[8:9], -1
	s_mov_b32 s19, -1
	s_branch .LBB13_136
.LBB13_135:                             ;   in Loop: Header=BB13_136 Depth=1
	s_or_b64 exec, exec, s[20:21]
	s_add_u32 s36, s36, 0xfffffe00
	s_addc_u32 s33, s33, -1
	s_and_b64 vcc, exec, s[2:3]
	s_mov_b32 s37, s38
	s_waitcnt lgkmcnt(0)
	s_barrier
	s_cbranch_vccnz .LBB13_166
.LBB13_136:                             ; =>This Loop Header: Depth=1
                                        ;     Child Loop BB13_140 Depth 2
                                        ;     Child Loop BB13_152 Depth 2
                                        ;       Child Loop BB13_155 Depth 3
	v_add_u32_e32 v4, s37, v0
	v_cmp_gt_i32_e32 vcc, 0, v4
	v_cmp_lt_i32_e64 s[0:1], -1, v4
	v_mov_b32_e32 v5, v3
	s_and_saveexec_b64 s[2:3], s[0:1]
	s_cbranch_execz .LBB13_138
; %bb.137:                              ;   in Loop: Header=BB13_136 Depth=1
	v_mad_u64_u32 v[6:7], s[20:21], s6, v4, 0
	v_mov_b32_e32 v2, v7
	v_mad_u64_u32 v[8:9], s[20:21], s7, v4, v[2:3]
	v_mov_b32_e32 v7, v8
	v_lshl_add_u64 v[6:7], v[6:7], 3, s[4:5]
	flat_load_dwordx2 v[6:7], v[6:7]
	s_waitcnt vmcnt(0) lgkmcnt(0)
	ds_write_b64 v22, v[6:7]
.LBB13_138:                             ;   in Loop: Header=BB13_136 Depth=1
	s_or_b64 exec, exec, s[2:3]
	v_add_u32_e32 v2, 1, v4
	v_mad_u64_u32 v[8:9], s[2:3], v4, v2, 0
	v_lshlrev_b64 v[8:9], 2, v[8:9]
	v_ashrrev_i32_e32 v7, 31, v4
	v_mov_b32_e32 v6, v4
	v_lshl_add_u64 v[10:11], v[4:5], 3, s[10:11]
	v_and_b32_e32 v8, -8, v8
	s_or_b64 s[2:3], s[8:9], vcc
	v_lshl_add_u64 v[6:7], v[6:7], 3, s[10:11]
	v_lshl_add_u64 v[8:9], v[10:11], 0, v[8:9]
	s_movk_i32 s24, 0x1ff
	s_movk_i32 s25, 0x1ff8
	s_xor_b64 s[20:21], s[2:3], -1
	s_waitcnt lgkmcnt(0)
	s_barrier
	s_branch .LBB13_140
.LBB13_139:                             ;   in Loop: Header=BB13_140 Depth=2
	s_or_b64 exec, exec, s[2:3]
	s_add_i32 s24, s24, -1
	s_add_i32 s25, s25, -8
	s_cmp_eq_u32 s24, -1
	s_cbranch_scc1 .LBB13_148
.LBB13_140:                             ;   Parent Loop BB13_136 Depth=1
                                        ; =>  This Inner Loop Header: Depth=2
	v_cmp_eq_u32_e32 vcc, s24, v0
	s_and_b64 s[22:23], vcc, s[20:21]
	s_and_saveexec_b64 s[2:3], s[22:23]
	s_cbranch_execz .LBB13_146
; %bb.141:                              ;   in Loop: Header=BB13_140 Depth=2
	flat_load_dwordx2 v[12:13], v[8:9]
	ds_read_b64 v[10:11], v22
                                        ; implicit-def: $vgpr14_vgpr15
	s_waitcnt vmcnt(0) lgkmcnt(0)
	v_cmp_ngt_f32_e64 s[22:23], |v12|, |v13|
	s_and_saveexec_b64 s[26:27], s[22:23]
	s_xor_b64 s[22:23], exec, s[26:27]
	s_cbranch_execz .LBB13_143
; %bb.142:                              ;   in Loop: Header=BB13_140 Depth=2
	v_div_scale_f32 v2, s[26:27], v13, v13, v12
	v_rcp_f32_e32 v5, v2
	v_div_scale_f32 v14, vcc, v12, v13, v12
	v_fma_f32 v15, -v2, v5, 1.0
	v_fmac_f32_e32 v5, v15, v5
	v_mul_f32_e32 v15, v14, v5
	v_fma_f32 v16, -v2, v15, v14
	v_fmac_f32_e32 v15, v16, v5
	v_fma_f32 v2, -v2, v15, v14
	v_div_fmas_f32 v2, v2, v5, v15
	v_div_fixup_f32 v2, v2, v13, v12
	v_fmac_f32_e32 v13, v12, v2
	v_div_scale_f32 v5, s[26:27], v13, v13, 1.0
	v_rcp_f32_e32 v12, v5
	s_nop 0
	v_fma_f32 v14, -v5, v12, 1.0
	v_fmac_f32_e32 v12, v14, v12
	v_div_scale_f32 v14, vcc, 1.0, v13, 1.0
	v_mul_f32_e32 v15, v14, v12
	v_fma_f32 v16, -v5, v15, v14
	v_fmac_f32_e32 v15, v16, v12
	v_fma_f32 v5, -v5, v15, v14
	v_div_fmas_f32 v5, v5, v12, v15
	v_pk_fma_f32 v[14:15], v[2:3], v[10:11], v[10:11] op_sel:[0,0,1] op_sel_hi:[1,1,0]
	v_pk_fma_f32 v[10:11], v[2:3], v[10:11], v[10:11] op_sel:[0,0,1] op_sel_hi:[0,1,0] neg_lo:[0,0,1] neg_hi:[0,0,1]
	v_div_fixup_f32 v12, v5, v13, 1.0
	v_mov_b32_e32 v15, v11
	v_pk_mul_f32 v[14:15], v[12:13], v[14:15] op_sel_hi:[0,1]
                                        ; implicit-def: $vgpr12_vgpr13
                                        ; implicit-def: $vgpr10_vgpr11
.LBB13_143:                             ;   in Loop: Header=BB13_140 Depth=2
	s_andn2_saveexec_b64 s[22:23], s[22:23]
	s_cbranch_execz .LBB13_145
; %bb.144:                              ;   in Loop: Header=BB13_140 Depth=2
	v_div_scale_f32 v2, s[26:27], v12, v12, v13
	v_rcp_f32_e32 v5, v2
	v_div_scale_f32 v14, vcc, v13, v12, v13
	v_fma_f32 v15, -v2, v5, 1.0
	v_fmac_f32_e32 v5, v15, v5
	v_mul_f32_e32 v15, v14, v5
	v_fma_f32 v16, -v2, v15, v14
	v_fmac_f32_e32 v15, v16, v5
	v_fma_f32 v2, -v2, v15, v14
	v_div_fmas_f32 v2, v2, v5, v15
	v_div_fixup_f32 v2, v2, v12, v13
	v_fmac_f32_e32 v12, v13, v2
	v_div_scale_f32 v5, s[26:27], v12, v12, 1.0
	v_rcp_f32_e32 v13, v5
	s_nop 0
	v_fma_f32 v14, -v5, v13, 1.0
	v_fmac_f32_e32 v13, v14, v13
	v_div_scale_f32 v14, vcc, 1.0, v12, 1.0
	v_mul_f32_e32 v15, v14, v13
	v_fma_f32 v16, -v5, v15, v14
	v_fmac_f32_e32 v15, v16, v13
	v_fma_f32 v5, -v5, v15, v14
	v_div_fmas_f32 v5, v5, v13, v15
	v_pk_fma_f32 v[14:15], v[2:3], v[10:11], v[10:11] op_sel:[0,1,0] op_sel_hi:[1,0,1]
	v_pk_fma_f32 v[10:11], v[2:3], v[10:11], v[10:11] op_sel:[0,1,0] op_sel_hi:[0,0,1] neg_lo:[1,0,0] neg_hi:[1,0,0]
	v_div_fixup_f32 v12, v5, v12, 1.0
	v_mov_b32_e32 v15, v11
	v_pk_mul_f32 v[14:15], v[12:13], v[14:15] op_sel_hi:[0,1]
.LBB13_145:                             ;   in Loop: Header=BB13_140 Depth=2
	s_or_b64 exec, exec, s[22:23]
	ds_write_b64 v22, v[14:15]
.LBB13_146:                             ;   in Loop: Header=BB13_140 Depth=2
	s_or_b64 exec, exec, s[2:3]
	s_add_i32 s23, s36, s24
	s_add_i32 s22, s23, 0xfffffe00
	v_or_b32_e32 v2, s22, v4
	v_cmp_gt_u32_e32 vcc, s24, v0
	v_cmp_lt_i32_e64 s[2:3], -1, v2
	s_and_b64 s[26:27], vcc, s[2:3]
	s_waitcnt lgkmcnt(0)
	s_barrier
	s_and_saveexec_b64 s[2:3], s[26:27]
	s_cbranch_execz .LBB13_139
; %bb.147:                              ;   in Loop: Header=BB13_140 Depth=2
	s_add_i32 s26, s23, 0xfffffe01
	s_mul_hi_u32 s23, s26, s22
	s_mul_i32 s22, s26, s22
	s_lshl_b64 s[22:23], s[22:23], 2
	s_and_b32 s22, s22, -8
	v_lshl_add_u64 v[10:11], v[6:7], 0, s[22:23]
	flat_load_dwordx2 v[10:11], v[10:11]
	v_mov_b32_e32 v2, s25
	ds_read_b64 v[12:13], v2
	ds_read_b64 v[14:15], v22
	s_waitcnt vmcnt(0) lgkmcnt(0)
	v_pk_mul_f32 v[16:17], v[12:13], v[10:11] op_sel:[1,1] op_sel_hi:[0,1]
	v_pk_fma_f32 v[18:19], v[12:13], v[10:11], v[16:17] neg_lo:[0,0,1] neg_hi:[0,0,1]
	v_pk_fma_f32 v[10:11], v[12:13], v[10:11], v[16:17] op_sel_hi:[1,0,1]
	s_nop 0
	v_mov_b32_e32 v19, v11
	v_pk_add_f32 v[10:11], v[14:15], v[18:19] neg_lo:[0,1] neg_hi:[0,1]
	ds_write_b64 v22, v[10:11]
	s_branch .LBB13_139
.LBB13_148:                             ;   in Loop: Header=BB13_136 Depth=1
	s_add_i32 s38, s37, 0xfffffe00
	s_cmp_lt_i32 s37, 1
	s_cselect_b64 s[2:3], -1, 0
	s_and_b64 vcc, exec, s[2:3]
	s_waitcnt lgkmcnt(0)
	s_barrier
	s_cbranch_vccnz .LBB13_164
; %bb.149:                              ;   in Loop: Header=BB13_136 Depth=1
	s_mov_b64 s[20:21], 0
	v_mov_b64_e32 v[6:7], v[0:1]
	s_mov_b32 s39, s38
                                        ; implicit-def: $sgpr22_sgpr23
	s_branch .LBB13_152
.LBB13_150:                             ;   in Loop: Header=BB13_152 Depth=2
	v_mad_u64_u32 v[10:11], s[26:27], s6, v2, 0
	v_mov_b32_e32 v12, v11
	v_mad_u64_u32 v[12:13], s[26:27], s7, v2, v[12:13]
	v_mov_b32_e32 v11, v12
	v_lshl_add_u64 v[10:11], v[10:11], 3, s[4:5]
	flat_load_dwordx2 v[12:13], v[10:11]
	s_add_i32 s28, s39, 0xfffffe00
	s_cmp_lt_i32 s39, 1
	s_cselect_b64 s[26:27], -1, 0
	s_andn2_b64 s[22:23], s[22:23], exec
	s_and_b64 s[26:27], s[26:27], exec
	v_lshl_add_u64 v[6:7], v[6:7], 0, s[18:19]
	s_or_b64 s[22:23], s[22:23], s[26:27]
	s_mov_b32 s39, s28
	s_waitcnt vmcnt(0) lgkmcnt(0)
	v_pk_add_f32 v[8:9], v[12:13], v[8:9] neg_lo:[0,1] neg_hi:[0,1]
	flat_store_dwordx2 v[10:11], v[8:9]
.LBB13_151:                             ;   in Loop: Header=BB13_152 Depth=2
	s_or_b64 exec, exec, s[24:25]
	s_and_b64 s[24:25], exec, s[22:23]
	s_or_b64 s[20:21], s[24:25], s[20:21]
	s_andn2_b64 exec, exec, s[20:21]
	s_cbranch_execz .LBB13_163
.LBB13_152:                             ;   Parent Loop BB13_136 Depth=1
                                        ; =>  This Loop Header: Depth=2
                                        ;       Child Loop BB13_155 Depth 3
	v_add_u32_e32 v2, s39, v0
	v_cmp_lt_i32_e32 vcc, -1, v2
	s_or_b64 s[22:23], s[22:23], exec
	s_and_saveexec_b64 s[24:25], vcc
	s_cbranch_execz .LBB13_151
; %bb.153:                              ;   in Loop: Header=BB13_152 Depth=2
	v_mov_b32_e32 v8, 0
	v_lshl_add_u64 v[10:11], v[2:3], 3, s[10:11]
	v_lshl_add_u64 v[12:13], v[6:7], 0, s[12:13]
	;; [unrolled: 1-line block ×3, first 2 shown]
	s_movk_i32 s40, 0x1000
	s_mov_b64 s[26:27], 0
	v_mov_b32_e32 v9, v8
	s_branch .LBB13_155
.LBB13_154:                             ;   in Loop: Header=BB13_155 Depth=3
	s_or_b64 exec, exec, s[28:29]
	s_add_i32 s40, s40, 16
	s_add_u32 s26, s26, 2
	s_waitcnt lgkmcnt(0)
	v_pk_add_f32 v[8:9], v[8:9], v[16:17]
	s_addc_u32 s27, s27, 0
	s_cmpk_eq_i32 s26, 0x200
	v_pk_add_f32 v[8:9], v[8:9], v[18:19]
	s_cbranch_scc1 .LBB13_150
.LBB13_155:                             ;   Parent Loop BB13_136 Depth=1
                                        ;     Parent Loop BB13_152 Depth=2
                                        ; =>    This Inner Loop Header: Depth=3
	v_cmp_ne_u32_e32 vcc, s26, v14
	s_or_b64 s[34:35], s[16:17], vcc
                                        ; implicit-def: $vgpr17
                                        ; implicit-def: $sgpr28_sgpr29
                                        ; implicit-def: $sgpr30_sgpr31
	s_and_saveexec_b64 s[42:43], s[34:35]
	s_xor_b64 s[34:35], exec, s[42:43]
	s_cbranch_execz .LBB13_157
; %bb.156:                              ;   in Loop: Header=BB13_155 Depth=3
	s_add_u32 s28, s36, s26
	s_addc_u32 s29, s33, s27
	s_add_u32 s30, s28, 0xfffffe01
	s_addc_u32 s31, s29, 0
	;; [unrolled: 2-line block ×3, first 2 shown]
	s_mul_i32 s42, s30, s42
	s_mul_hi_u32 s43, s30, s41
	s_add_i32 s43, s43, s42
	s_mul_i32 s42, s30, s41
	s_lshl_b64 s[42:43], s[42:43], 2
	s_and_b32 s42, s42, -8
	v_lshl_add_u64 v[16:17], v[10:11], 0, s[42:43]
	flat_load_dwordx2 v[16:17], v[16:17]
	v_mov_b32_e32 v5, s40
	ds_read_b64 v[18:19], v5
	s_waitcnt vmcnt(0) lgkmcnt(0)
	v_pk_mul_f32 v[20:21], v[18:19], v[16:17] op_sel:[1,1] op_sel_hi:[0,1]
	v_pk_mul_f32 v[24:25], v[18:19], v[16:17] op_sel_hi:[1,0]
	v_pk_fma_f32 v[16:17], v[18:19], v[16:17], v[20:21] op_sel_hi:[1,0,1]
	s_nop 0
	v_sub_f32_e32 v16, v24, v20
.LBB13_157:                             ;   in Loop: Header=BB13_155 Depth=3
	s_or_saveexec_b64 s[34:35], s[34:35]
	v_mov_b64_e32 v[18:19], s[30:31]
	v_mov_b64_e32 v[20:21], s[28:29]
	s_xor_b64 exec, exec, s[34:35]
	s_cbranch_execz .LBB13_159
; %bb.158:                              ;   in Loop: Header=BB13_155 Depth=3
	v_mov_b32_e32 v5, s40
	ds_read_b64 v[16:17], v5
	s_add_u32 s28, s36, s26
	s_addc_u32 s29, s33, s27
	s_add_u32 s30, s28, 0xfffffe01
	s_addc_u32 s31, s29, 0
	v_mov_b64_e32 v[18:19], s[30:31]
	v_mov_b64_e32 v[20:21], s[28:29]
.LBB13_159:                             ;   in Loop: Header=BB13_155 Depth=3
	s_or_b64 exec, exec, s[34:35]
	v_cmp_ne_u32_e32 vcc, s26, v12
	s_or_b64 s[28:29], s[16:17], vcc
                                        ; implicit-def: $vgpr19
	s_and_saveexec_b64 s[30:31], s[28:29]
	s_xor_b64 s[28:29], exec, s[30:31]
	s_cbranch_execz .LBB13_161
; %bb.160:                              ;   in Loop: Header=BB13_155 Depth=3
	v_add_u32_e32 v5, 0xfffffe02, v20
	v_mad_u64_u32 v[18:19], s[30:31], v5, v18, 0
	v_lshlrev_b64 v[18:19], 2, v[18:19]
	v_and_b32_e32 v18, -8, v18
	v_lshl_add_u64 v[18:19], v[10:11], 0, v[18:19]
	flat_load_dwordx2 v[18:19], v[18:19]
	v_mov_b32_e32 v5, s40
	ds_read_b64 v[20:21], v5 offset:8
	s_waitcnt vmcnt(0) lgkmcnt(0)
	v_pk_mul_f32 v[24:25], v[20:21], v[18:19] op_sel:[1,1] op_sel_hi:[0,1]
	v_pk_mul_f32 v[26:27], v[20:21], v[18:19] op_sel_hi:[1,0]
	v_pk_fma_f32 v[18:19], v[20:21], v[18:19], v[24:25] op_sel_hi:[1,0,1]
	s_nop 0
	v_sub_f32_e32 v18, v26, v24
.LBB13_161:                             ;   in Loop: Header=BB13_155 Depth=3
	s_andn2_saveexec_b64 s[28:29], s[28:29]
	s_cbranch_execz .LBB13_154
; %bb.162:                              ;   in Loop: Header=BB13_155 Depth=3
	v_mov_b32_e32 v5, s40
	ds_read_b64 v[18:19], v5 offset:8
	s_branch .LBB13_154
.LBB13_163:                             ;   in Loop: Header=BB13_136 Depth=1
	s_or_b64 exec, exec, s[20:21]
.LBB13_164:                             ;   in Loop: Header=BB13_136 Depth=1
	s_and_saveexec_b64 s[20:21], s[0:1]
	s_cbranch_execz .LBB13_135
; %bb.165:                              ;   in Loop: Header=BB13_136 Depth=1
	v_mad_u64_u32 v[6:7], s[0:1], s6, v4, 0
	ds_read_b64 v[8:9], v22
	v_mov_b32_e32 v2, v7
	v_mad_u64_u32 v[4:5], s[0:1], s7, v4, v[2:3]
	v_mov_b32_e32 v7, v4
	v_lshl_add_u64 v[4:5], v[6:7], 3, s[4:5]
	s_waitcnt lgkmcnt(0)
	flat_store_dwordx2 v[4:5], v[8:9]
	s_branch .LBB13_135
.LBB13_166:
	s_endpgm
	.section	.rodata,"a",@progbits
	.p2align	6, 0x0
	.amdhsa_kernel _ZL19rocblas_tpsv_kernelILb0ELi512EPKPK19rocblas_complex_numIfEPKPS1_Ev18rocblas_operation_bbiT1_llT2_lll
		.amdhsa_group_segment_fixed_size 8192
		.amdhsa_private_segment_fixed_size 0
		.amdhsa_kernarg_size 72
		.amdhsa_user_sgpr_count 2
		.amdhsa_user_sgpr_dispatch_ptr 0
		.amdhsa_user_sgpr_queue_ptr 0
		.amdhsa_user_sgpr_kernarg_segment_ptr 1
		.amdhsa_user_sgpr_dispatch_id 0
		.amdhsa_user_sgpr_kernarg_preload_length 0
		.amdhsa_user_sgpr_kernarg_preload_offset 0
		.amdhsa_user_sgpr_private_segment_size 0
		.amdhsa_uses_dynamic_stack 0
		.amdhsa_enable_private_segment 0
		.amdhsa_system_sgpr_workgroup_id_x 1
		.amdhsa_system_sgpr_workgroup_id_y 0
		.amdhsa_system_sgpr_workgroup_id_z 0
		.amdhsa_system_sgpr_workgroup_info 0
		.amdhsa_system_vgpr_workitem_id 0
		.amdhsa_next_free_vgpr 32
		.amdhsa_next_free_sgpr 72
		.amdhsa_accum_offset 32
		.amdhsa_reserve_vcc 1
		.amdhsa_float_round_mode_32 0
		.amdhsa_float_round_mode_16_64 0
		.amdhsa_float_denorm_mode_32 3
		.amdhsa_float_denorm_mode_16_64 3
		.amdhsa_dx10_clamp 1
		.amdhsa_ieee_mode 1
		.amdhsa_fp16_overflow 0
		.amdhsa_tg_split 0
		.amdhsa_exception_fp_ieee_invalid_op 0
		.amdhsa_exception_fp_denorm_src 0
		.amdhsa_exception_fp_ieee_div_zero 0
		.amdhsa_exception_fp_ieee_overflow 0
		.amdhsa_exception_fp_ieee_underflow 0
		.amdhsa_exception_fp_ieee_inexact 0
		.amdhsa_exception_int_div_zero 0
	.end_amdhsa_kernel
	.section	.text._ZL19rocblas_tpsv_kernelILb0ELi512EPKPK19rocblas_complex_numIfEPKPS1_Ev18rocblas_operation_bbiT1_llT2_lll,"axG",@progbits,_ZL19rocblas_tpsv_kernelILb0ELi512EPKPK19rocblas_complex_numIfEPKPS1_Ev18rocblas_operation_bbiT1_llT2_lll,comdat
.Lfunc_end13:
	.size	_ZL19rocblas_tpsv_kernelILb0ELi512EPKPK19rocblas_complex_numIfEPKPS1_Ev18rocblas_operation_bbiT1_llT2_lll, .Lfunc_end13-_ZL19rocblas_tpsv_kernelILb0ELi512EPKPK19rocblas_complex_numIfEPKPS1_Ev18rocblas_operation_bbiT1_llT2_lll
                                        ; -- End function
	.set _ZL19rocblas_tpsv_kernelILb0ELi512EPKPK19rocblas_complex_numIfEPKPS1_Ev18rocblas_operation_bbiT1_llT2_lll.num_vgpr, 32
	.set _ZL19rocblas_tpsv_kernelILb0ELi512EPKPK19rocblas_complex_numIfEPKPS1_Ev18rocblas_operation_bbiT1_llT2_lll.num_agpr, 0
	.set _ZL19rocblas_tpsv_kernelILb0ELi512EPKPK19rocblas_complex_numIfEPKPS1_Ev18rocblas_operation_bbiT1_llT2_lll.numbered_sgpr, 72
	.set _ZL19rocblas_tpsv_kernelILb0ELi512EPKPK19rocblas_complex_numIfEPKPS1_Ev18rocblas_operation_bbiT1_llT2_lll.num_named_barrier, 0
	.set _ZL19rocblas_tpsv_kernelILb0ELi512EPKPK19rocblas_complex_numIfEPKPS1_Ev18rocblas_operation_bbiT1_llT2_lll.private_seg_size, 0
	.set _ZL19rocblas_tpsv_kernelILb0ELi512EPKPK19rocblas_complex_numIfEPKPS1_Ev18rocblas_operation_bbiT1_llT2_lll.uses_vcc, 1
	.set _ZL19rocblas_tpsv_kernelILb0ELi512EPKPK19rocblas_complex_numIfEPKPS1_Ev18rocblas_operation_bbiT1_llT2_lll.uses_flat_scratch, 0
	.set _ZL19rocblas_tpsv_kernelILb0ELi512EPKPK19rocblas_complex_numIfEPKPS1_Ev18rocblas_operation_bbiT1_llT2_lll.has_dyn_sized_stack, 0
	.set _ZL19rocblas_tpsv_kernelILb0ELi512EPKPK19rocblas_complex_numIfEPKPS1_Ev18rocblas_operation_bbiT1_llT2_lll.has_recursion, 0
	.set _ZL19rocblas_tpsv_kernelILb0ELi512EPKPK19rocblas_complex_numIfEPKPS1_Ev18rocblas_operation_bbiT1_llT2_lll.has_indirect_call, 0
	.section	.AMDGPU.csdata,"",@progbits
; Kernel info:
; codeLenInByte = 7300
; TotalNumSgprs: 78
; NumVgprs: 32
; NumAgprs: 0
; TotalNumVgprs: 32
; ScratchSize: 0
; MemoryBound: 0
; FloatMode: 240
; IeeeMode: 1
; LDSByteSize: 8192 bytes/workgroup (compile time only)
; SGPRBlocks: 9
; VGPRBlocks: 3
; NumSGPRsForWavesPerEU: 78
; NumVGPRsForWavesPerEU: 32
; AccumOffset: 32
; Occupancy: 8
; WaveLimiterHint : 1
; COMPUTE_PGM_RSRC2:SCRATCH_EN: 0
; COMPUTE_PGM_RSRC2:USER_SGPR: 2
; COMPUTE_PGM_RSRC2:TRAP_HANDLER: 0
; COMPUTE_PGM_RSRC2:TGID_X_EN: 1
; COMPUTE_PGM_RSRC2:TGID_Y_EN: 0
; COMPUTE_PGM_RSRC2:TGID_Z_EN: 0
; COMPUTE_PGM_RSRC2:TIDIG_COMP_CNT: 0
; COMPUTE_PGM_RSRC3_GFX90A:ACCUM_OFFSET: 7
; COMPUTE_PGM_RSRC3_GFX90A:TG_SPLIT: 0
	.section	.text._ZL19rocblas_tpsv_kernelILb1ELi512EPKPK19rocblas_complex_numIdEPKPS1_Ev18rocblas_operation_bbiT1_llT2_lll,"axG",@progbits,_ZL19rocblas_tpsv_kernelILb1ELi512EPKPK19rocblas_complex_numIdEPKPS1_Ev18rocblas_operation_bbiT1_llT2_lll,comdat
	.globl	_ZL19rocblas_tpsv_kernelILb1ELi512EPKPK19rocblas_complex_numIdEPKPS1_Ev18rocblas_operation_bbiT1_llT2_lll ; -- Begin function _ZL19rocblas_tpsv_kernelILb1ELi512EPKPK19rocblas_complex_numIdEPKPS1_Ev18rocblas_operation_bbiT1_llT2_lll
	.p2align	8
	.type	_ZL19rocblas_tpsv_kernelILb1ELi512EPKPK19rocblas_complex_numIdEPKPS1_Ev18rocblas_operation_bbiT1_llT2_lll,@function
_ZL19rocblas_tpsv_kernelILb1ELi512EPKPK19rocblas_complex_numIdEPKPS1_Ev18rocblas_operation_bbiT1_llT2_lll: ; @_ZL19rocblas_tpsv_kernelILb1ELi512EPKPK19rocblas_complex_numIdEPKPS1_Ev18rocblas_operation_bbiT1_llT2_lll
; %bb.0:
	s_load_dwordx2 s[22:23], s[0:1], 0x0
	s_load_dwordx2 s[12:13], s[0:1], 0x4
	s_load_dwordx4 s[16:19], s[0:1], 0x10
	s_load_dwordx2 s[14:15], s[0:1], 0x28
	s_mov_b32 s3, 0
	s_waitcnt lgkmcnt(0)
	s_bitcmp1_b32 s23, 0
	s_cselect_b64 s[4:5], -1, 0
	s_xor_b64 s[20:21], s[4:5], -1
	s_bitcmp1_b32 s12, 8
	s_cselect_b64 s[8:9], -1, 0
	s_lshl_b64 s[2:3], s[2:3], 3
	s_add_u32 s10, s16, s2
	s_addc_u32 s11, s17, s3
	s_load_dwordx2 s[16:17], s[10:11], 0x0
	s_load_dwordx4 s[4:7], s[0:1], 0x30
	s_lshl_b64 s[18:19], s[18:19], 4
	s_waitcnt lgkmcnt(0)
	s_add_u32 s10, s16, s18
	s_addc_u32 s11, s17, s19
	s_add_u32 s0, s14, s2
	s_addc_u32 s1, s15, s3
	s_load_dwordx2 s[0:1], s[0:1], 0x0
	s_lshl_b64 s[2:3], s[4:5], 4
	s_waitcnt lgkmcnt(0)
	s_add_u32 s4, s0, s2
	s_addc_u32 s5, s1, s3
	s_cmp_gt_i32 s13, 0
	s_cselect_b64 s[14:15], -1, 0
	s_cmpk_lg_i32 s22, 0x6f
	s_mov_b64 s[0:1], -1
	s_cbranch_scc0 .LBB14_92
; %bb.1:
	s_and_b64 vcc, exec, s[20:21]
	s_cbranch_vccz .LBB14_44
; %bb.2:
	s_andn2_b64 vcc, exec, s[14:15]
	s_cbranch_vccnz .LBB14_43
; %bb.3:
	v_lshlrev_b32_e32 v2, 4, v0
	v_or_b32_e32 v1, 0x6000, v2
	v_mov_b32_e32 v3, s19
	v_sub_co_u32_e32 v2, vcc, s18, v2
	s_mov_b64 s[0:1], 0x1ff8
	s_nop 0
	v_subbrev_co_u32_e32 v3, vcc, 0, v3, vcc
	v_lshl_add_u64 v[2:3], s[16:17], 0, v[2:3]
	s_lshl_b32 s22, s13, 1
	v_lshl_add_u64 v[18:19], v[2:3], 0, s[0:1]
	s_ashr_i32 s1, s13, 31
	s_mov_b32 s0, s13
	s_add_i32 s38, s13, 0xfffffe00
	s_or_b32 s12, s22, 1
	s_lshl_b64 s[0:1], s[0:1], 4
	s_add_u32 s0, s18, s0
	s_addc_u32 s1, s19, s1
	s_add_u32 s0, s16, s0
	v_sub_u32_e32 v2, s13, v0
	s_addc_u32 s1, s17, s1
	v_add_u32_e32 v30, 0x201, v2
	v_add_u32_e32 v2, s13, v0
	s_add_u32 s2, s0, 0xffffe000
	v_add_u32_e32 v31, 0xfffffe00, v2
	s_addc_u32 s3, s1, -1
	v_add_u32_e32 v32, 0xfffffc00, v2
	s_ashr_i32 s33, s22, 31
	s_movk_i32 s40, 0x400
	s_movk_i32 s41, 0x401
	;; [unrolled: 1-line block ×4, first 2 shown]
	s_mov_b64 s[22:23], 0x2000
	s_mov_b64 s[24:25], 0x200
	s_xor_b64 s[26:27], s[8:9], -1
	s_branch .LBB14_5
.LBB14_4:                               ;   in Loop: Header=BB14_5 Depth=1
	s_or_b64 exec, exec, s[30:31]
	s_add_u32 s2, s2, 0xffffe000
	v_add_u32_e32 v30, 0x200, v30
	v_add_u32_e32 v31, 0xfffffe00, v31
	s_addc_u32 s3, s3, -1
	v_add_u32_e32 v32, 0xfffffe00, v32
	s_andn2_b64 vcc, exec, s[28:29]
	s_mov_b32 s38, s44
	s_waitcnt lgkmcnt(0)
	s_barrier
	s_cbranch_vccz .LBB14_43
.LBB14_5:                               ; =>This Loop Header: Depth=1
                                        ;     Child Loop BB14_9 Depth 2
                                        ;     Child Loop BB14_21 Depth 2
                                        ;       Child Loop BB14_24 Depth 3
	v_add_u32_e32 v33, s38, v0
	v_cmp_gt_i32_e32 vcc, 0, v33
	v_cmp_lt_i32_e64 s[0:1], -1, v33
	s_and_saveexec_b64 s[28:29], s[0:1]
	s_cbranch_execz .LBB14_7
; %bb.6:                                ;   in Loop: Header=BB14_5 Depth=1
	v_mad_u64_u32 v[2:3], s[30:31], s6, v33, 0
	v_mov_b32_e32 v4, v3
	v_mad_u64_u32 v[4:5], s[30:31], s7, v33, v[4:5]
	v_mov_b32_e32 v3, v4
	v_lshl_add_u64 v[2:3], v[2:3], 4, s[4:5]
	flat_load_dwordx4 v[2:5], v[2:3]
	s_waitcnt vmcnt(0) lgkmcnt(0)
	ds_write2_b64 v1, v[2:3], v[4:5] offset1:1
.LBB14_7:                               ;   in Loop: Header=BB14_5 Depth=1
	s_or_b64 exec, exec, s[28:29]
	v_mad_u64_u32 v[2:3], s[28:29], v30, v31, 0
	v_ashrrev_i32_e32 v5, 31, v30
	v_mov_b32_e32 v4, v3
	v_mad_u64_u32 v[4:5], s[28:29], v5, v31, v[4:5]
	v_mov_b32_e32 v3, v4
	v_lshlrev_b64 v[2:3], 3, v[2:3]
	v_and_b32_e32 v2, -16, v2
	v_lshl_add_u64 v[14:15], v[18:19], 0, v[2:3]
	s_not_b32 s28, s38
	v_sub_u32_e32 v2, s12, v33
	v_max_i32_e32 v20, s28, v0
	v_ashrrev_i32_e32 v5, 31, v2
	v_mad_u64_u32 v[2:3], s[28:29], v2, v33, 0
	v_mov_b32_e32 v4, v3
	v_mad_u64_u32 v[4:5], s[28:29], v5, v33, v[4:5]
	v_mov_b32_e32 v3, v4
	v_lshlrev_b64 v[2:3], 3, v[2:3]
	v_and_b32_e32 v2, -16, v2
	s_or_b64 s[28:29], vcc, s[8:9]
	v_lshl_add_u64 v[16:17], s[10:11], 0, v[2:3]
	s_movk_i32 s39, 0x1ff
	s_movk_i32 s44, 0x7ff0
	s_xor_b64 s[28:29], s[28:29], -1
	s_xor_b64 s[30:31], vcc, -1
	s_waitcnt lgkmcnt(0)
	s_barrier
	s_branch .LBB14_9
.LBB14_8:                               ;   in Loop: Header=BB14_9 Depth=2
	s_or_b64 exec, exec, s[34:35]
	s_add_i32 s39, s39, -1
	s_add_i32 s44, s44, -16
	s_cmp_eq_u32 s39, -1
	v_lshl_add_u64 v[14:15], v[14:15], 0, -16
	s_cbranch_scc1 .LBB14_17
.LBB14_9:                               ;   Parent Loop BB14_5 Depth=1
                                        ; =>  This Inner Loop Header: Depth=2
	v_cmp_eq_u32_e32 vcc, s39, v0
	s_and_b64 s[36:37], vcc, s[28:29]
	s_and_saveexec_b64 s[34:35], s[36:37]
	s_cbranch_execz .LBB14_15
; %bb.10:                               ;   in Loop: Header=BB14_9 Depth=2
	flat_load_dwordx4 v[6:9], v[16:17]
	ds_read_b128 v[2:5], v1
                                        ; implicit-def: $vgpr10_vgpr11
	s_waitcnt vmcnt(0) lgkmcnt(0)
	v_cmp_ngt_f64_e64 s[36:37], |v[6:7]|, |v[8:9]|
	s_and_saveexec_b64 s[46:47], s[36:37]
	s_xor_b64 s[36:37], exec, s[46:47]
	s_cbranch_execz .LBB14_12
; %bb.11:                               ;   in Loop: Header=BB14_9 Depth=2
	v_div_scale_f64 v[10:11], s[46:47], -v[8:9], -v[8:9], v[6:7]
	v_rcp_f64_e32 v[12:13], v[10:11]
	v_div_scale_f64 v[22:23], vcc, v[6:7], -v[8:9], v[6:7]
	v_fma_f64 v[24:25], -v[10:11], v[12:13], 1.0
	v_fmac_f64_e32 v[12:13], v[12:13], v[24:25]
	v_fma_f64 v[24:25], -v[10:11], v[12:13], 1.0
	v_fmac_f64_e32 v[12:13], v[12:13], v[24:25]
	v_mul_f64 v[24:25], v[22:23], v[12:13]
	v_fma_f64 v[10:11], -v[10:11], v[24:25], v[22:23]
	v_div_fmas_f64 v[10:11], v[10:11], v[12:13], v[24:25]
	v_div_fixup_f64 v[12:13], v[10:11], -v[8:9], v[6:7]
	v_fma_f64 v[6:7], v[6:7], v[12:13], -v[8:9]
	v_div_scale_f64 v[8:9], s[46:47], v[6:7], v[6:7], 1.0
	v_rcp_f64_e32 v[10:11], v[8:9]
	s_nop 0
	v_fma_f64 v[22:23], -v[8:9], v[10:11], 1.0
	v_fmac_f64_e32 v[10:11], v[10:11], v[22:23]
	v_fma_f64 v[22:23], -v[8:9], v[10:11], 1.0
	v_fmac_f64_e32 v[10:11], v[10:11], v[22:23]
	v_div_scale_f64 v[22:23], vcc, 1.0, v[6:7], 1.0
	v_mul_f64 v[24:25], v[22:23], v[10:11]
	v_fma_f64 v[8:9], -v[8:9], v[24:25], v[22:23]
	s_nop 1
	v_div_fmas_f64 v[8:9], v[8:9], v[10:11], v[24:25]
	v_div_fixup_f64 v[6:7], v[8:9], v[6:7], 1.0
	v_fma_f64 v[8:9], v[12:13], v[2:3], v[4:5]
	v_fma_f64 v[2:3], v[12:13], v[4:5], -v[2:3]
	v_mul_f64 v[10:11], v[8:9], v[6:7]
	v_mul_f64 v[12:13], v[6:7], v[2:3]
                                        ; implicit-def: $vgpr6_vgpr7
                                        ; implicit-def: $vgpr4_vgpr5
.LBB14_12:                              ;   in Loop: Header=BB14_9 Depth=2
	s_andn2_saveexec_b64 s[36:37], s[36:37]
	s_cbranch_execz .LBB14_14
; %bb.13:                               ;   in Loop: Header=BB14_9 Depth=2
	v_div_scale_f64 v[10:11], s[46:47], v[6:7], v[6:7], -v[8:9]
	v_rcp_f64_e32 v[12:13], v[10:11]
	v_div_scale_f64 v[22:23], vcc, -v[8:9], v[6:7], -v[8:9]
	v_fma_f64 v[24:25], -v[10:11], v[12:13], 1.0
	v_fmac_f64_e32 v[12:13], v[12:13], v[24:25]
	v_fma_f64 v[24:25], -v[10:11], v[12:13], 1.0
	v_fmac_f64_e32 v[12:13], v[12:13], v[24:25]
	v_mul_f64 v[24:25], v[22:23], v[12:13]
	v_fma_f64 v[10:11], -v[10:11], v[24:25], v[22:23]
	v_div_fmas_f64 v[10:11], v[10:11], v[12:13], v[24:25]
	v_div_fixup_f64 v[12:13], v[10:11], v[6:7], -v[8:9]
	v_fma_f64 v[6:7], -v[8:9], v[12:13], v[6:7]
	v_div_scale_f64 v[8:9], s[46:47], v[6:7], v[6:7], 1.0
	v_rcp_f64_e32 v[10:11], v[8:9]
	s_nop 0
	v_fma_f64 v[22:23], -v[8:9], v[10:11], 1.0
	v_fmac_f64_e32 v[10:11], v[10:11], v[22:23]
	v_fma_f64 v[22:23], -v[8:9], v[10:11], 1.0
	v_fmac_f64_e32 v[10:11], v[10:11], v[22:23]
	v_div_scale_f64 v[22:23], vcc, 1.0, v[6:7], 1.0
	v_mul_f64 v[24:25], v[22:23], v[10:11]
	v_fma_f64 v[8:9], -v[8:9], v[24:25], v[22:23]
	s_nop 1
	v_div_fmas_f64 v[8:9], v[8:9], v[10:11], v[24:25]
	v_div_fixup_f64 v[6:7], v[8:9], v[6:7], 1.0
	v_fma_f64 v[8:9], v[12:13], v[4:5], v[2:3]
	v_fma_f64 v[2:3], -v[12:13], v[2:3], v[4:5]
	v_mul_f64 v[10:11], v[6:7], v[8:9]
	v_mul_f64 v[12:13], v[2:3], v[6:7]
.LBB14_14:                              ;   in Loop: Header=BB14_9 Depth=2
	s_or_b64 exec, exec, s[36:37]
	ds_write_b128 v1, v[10:13]
.LBB14_15:                              ;   in Loop: Header=BB14_9 Depth=2
	s_or_b64 exec, exec, s[34:35]
	v_cmp_gt_u32_e32 vcc, s39, v20
	s_and_b64 s[36:37], s[30:31], vcc
	s_waitcnt lgkmcnt(0)
	s_barrier
	s_and_saveexec_b64 s[34:35], s[36:37]
	s_cbranch_execz .LBB14_8
; %bb.16:                               ;   in Loop: Header=BB14_9 Depth=2
	v_add_co_u32_e32 v2, vcc, -8, v14
	v_mov_b32_e32 v6, s44
	s_nop 0
	v_addc_co_u32_e32 v3, vcc, -1, v15, vcc
	flat_load_dwordx4 v[2:5], v[2:3]
	ds_read_b128 v[6:9], v6
	ds_read_b128 v[10:13], v1
	s_waitcnt vmcnt(0) lgkmcnt(0)
	v_mul_f64 v[22:23], v[4:5], v[8:9]
	v_mul_f64 v[4:5], v[4:5], v[6:7]
	v_fmac_f64_e32 v[22:23], v[2:3], v[6:7]
	v_fma_f64 v[4:5], v[2:3], v[8:9], -v[4:5]
	v_add_f64 v[2:3], v[10:11], -v[22:23]
	v_add_f64 v[4:5], v[12:13], -v[4:5]
	ds_write_b128 v1, v[2:5]
	s_branch .LBB14_8
.LBB14_17:                              ;   in Loop: Header=BB14_5 Depth=1
	s_add_i32 s44, s38, 0xfffffe00
	s_cmp_lt_i32 s38, 1
	s_cselect_b64 s[28:29], -1, 0
	s_and_b64 vcc, exec, s[28:29]
	s_waitcnt lgkmcnt(0)
	s_barrier
	s_cbranch_vccnz .LBB14_41
; %bb.18:                               ;   in Loop: Header=BB14_5 Depth=1
	v_ashrrev_i32_e32 v2, 31, v32
	v_mad_i64_i32 v[20:21], s[30:31], v32, -16, s[2:3]
	v_mov_b32_e32 v3, s33
	v_sub_co_u32_e32 v22, vcc, s12, v32
	s_mov_b64 s[30:31], 0
	s_nop 0
	v_subb_co_u32_e32 v23, vcc, v3, v2, vcc
	v_mov_b32_e32 v34, v32
	v_mov_b32_e32 v35, v0
	s_mov_b32 s45, s44
                                        ; implicit-def: $sgpr34_sgpr35
	s_branch .LBB14_21
.LBB14_19:                              ;   in Loop: Header=BB14_21 Depth=2
	v_mad_u64_u32 v[2:3], s[38:39], s6, v36, 0
	v_mov_b32_e32 v4, v3
	v_mad_u64_u32 v[4:5], s[38:39], s7, v36, v[4:5]
	v_mov_b32_e32 v3, v4
	v_lshl_add_u64 v[6:7], v[2:3], 4, s[4:5]
	flat_load_dwordx4 v[2:5], v[6:7]
	s_add_i32 s46, s45, 0xfffffe00
	s_cmp_lt_i32 s45, 1
	s_cselect_b64 s[38:39], -1, 0
	s_andn2_b64 s[34:35], s[34:35], exec
	s_and_b64 s[38:39], s[38:39], exec
	v_add_u32_e32 v35, 0xfffffe00, v35
	v_lshl_add_u64 v[20:21], v[20:21], 0, s[22:23]
	v_lshl_add_u64 v[22:23], v[22:23], 0, s[24:25]
	v_add_u32_e32 v34, 0xfffffe00, v34
	s_or_b64 s[34:35], s[34:35], s[38:39]
	s_mov_b32 s45, s46
	s_waitcnt vmcnt(0) lgkmcnt(0)
	v_add_f64 v[2:3], v[2:3], -v[26:27]
	v_add_f64 v[4:5], v[4:5], -v[24:25]
	flat_store_dwordx4 v[6:7], v[2:5]
.LBB14_20:                              ;   in Loop: Header=BB14_21 Depth=2
	s_or_b64 exec, exec, s[36:37]
	s_and_b64 s[36:37], exec, s[34:35]
	s_or_b64 s[30:31], s[36:37], s[30:31]
	s_andn2_b64 exec, exec, s[30:31]
	s_cbranch_execz .LBB14_40
.LBB14_21:                              ;   Parent Loop BB14_5 Depth=1
                                        ; =>  This Loop Header: Depth=2
                                        ;       Child Loop BB14_24 Depth 3
	v_add_u32_e32 v36, s45, v0
	v_cmp_lt_i32_e32 vcc, -1, v36
	s_or_b64 s[34:35], s[34:35], exec
	s_and_saveexec_b64 s[36:37], vcc
	s_cbranch_execz .LBB14_20
; %bb.22:                               ;   in Loop: Header=BB14_21 Depth=2
	v_mad_u64_u32 v[2:3], s[38:39], v22, v34, 0
	v_mov_b32_e32 v4, v3
	v_mad_u64_u32 v[4:5], s[38:39], v23, v34, v[4:5]
	v_mov_b32_e32 v3, v4
	v_lshlrev_b64 v[2:3], 3, v[2:3]
	v_and_b32_e32 v2, -16, v2
	v_lshl_add_u64 v[28:29], v[20:21], 0, v[2:3]
	v_mov_b64_e32 v[24:25], 0
	s_movk_i32 s46, 0x6000
	s_movk_i32 s47, 0x200
	v_mov_b64_e32 v[26:27], 0
	s_branch .LBB14_24
.LBB14_23:                              ;   in Loop: Header=BB14_24 Depth=3
	s_or_b64 exec, exec, s[38:39]
	s_waitcnt lgkmcnt(0)
	v_add_f64 v[4:5], v[24:25], v[4:5]
	v_add_f64 v[2:3], v[26:27], v[2:3]
	;; [unrolled: 1-line block ×6, first 2 shown]
	s_add_i32 s46, s46, 64
	s_add_i32 s47, s47, -4
	v_add_f64 v[24:25], v[4:5], v[16:17]
	v_add_f64 v[26:27], v[2:3], v[14:15]
	s_cmp_eq_u32 s47, 0
	v_lshl_add_u64 v[28:29], v[28:29], 0, 64
	s_cbranch_scc1 .LBB14_19
.LBB14_24:                              ;   Parent Loop BB14_5 Depth=1
                                        ;     Parent Loop BB14_21 Depth=2
                                        ; =>    This Inner Loop Header: Depth=3
	v_add_u32_e32 v14, s47, v35
	v_cmp_ne_u32_e32 vcc, s40, v14
	s_or_b64 s[38:39], s[26:27], vcc
                                        ; implicit-def: $vgpr4_vgpr5
	s_and_saveexec_b64 s[48:49], s[38:39]
	s_xor_b64 s[38:39], exec, s[48:49]
	s_cbranch_execz .LBB14_26
; %bb.25:                               ;   in Loop: Header=BB14_24 Depth=3
	flat_load_dwordx4 v[4:7], v[28:29]
	v_mov_b32_e32 v2, s46
	ds_read_b128 v[8:11], v2
	s_waitcnt vmcnt(0) lgkmcnt(0)
	v_mul_f64 v[2:3], v[6:7], v[10:11]
	v_mul_f64 v[6:7], v[6:7], v[8:9]
	v_fmac_f64_e32 v[2:3], v[4:5], v[8:9]
	v_fma_f64 v[4:5], v[4:5], v[10:11], -v[6:7]
.LBB14_26:                              ;   in Loop: Header=BB14_24 Depth=3
	s_andn2_saveexec_b64 s[38:39], s[38:39]
; %bb.27:                               ;   in Loop: Header=BB14_24 Depth=3
	v_mov_b32_e32 v2, s46
	ds_read_b128 v[2:5], v2
; %bb.28:                               ;   in Loop: Header=BB14_24 Depth=3
	s_or_b64 exec, exec, s[38:39]
	v_cmp_ne_u32_e32 vcc, s41, v14
	s_or_b64 s[38:39], s[26:27], vcc
                                        ; implicit-def: $vgpr8_vgpr9
	s_and_saveexec_b64 s[48:49], s[38:39]
	s_xor_b64 s[38:39], exec, s[48:49]
	s_cbranch_execz .LBB14_30
; %bb.29:                               ;   in Loop: Header=BB14_24 Depth=3
	flat_load_dwordx4 v[8:11], v[28:29] offset:16
	v_mov_b32_e32 v6, s46
	ds_read_b128 v[38:41], v6 offset:16
	s_waitcnt vmcnt(0) lgkmcnt(0)
	v_mul_f64 v[6:7], v[10:11], v[40:41]
	v_mul_f64 v[10:11], v[10:11], v[38:39]
	v_fmac_f64_e32 v[6:7], v[8:9], v[38:39]
	v_fma_f64 v[8:9], v[8:9], v[40:41], -v[10:11]
.LBB14_30:                              ;   in Loop: Header=BB14_24 Depth=3
	s_andn2_saveexec_b64 s[38:39], s[38:39]
; %bb.31:                               ;   in Loop: Header=BB14_24 Depth=3
	v_mov_b32_e32 v6, s46
	ds_read_b128 v[6:9], v6 offset:16
; %bb.32:                               ;   in Loop: Header=BB14_24 Depth=3
	s_or_b64 exec, exec, s[38:39]
	v_cmp_ne_u32_e32 vcc, s42, v14
	s_or_b64 s[38:39], s[26:27], vcc
                                        ; implicit-def: $vgpr12_vgpr13
	s_and_saveexec_b64 s[48:49], s[38:39]
	s_xor_b64 s[38:39], exec, s[48:49]
	s_cbranch_execz .LBB14_34
; %bb.33:                               ;   in Loop: Header=BB14_24 Depth=3
	flat_load_dwordx4 v[38:41], v[28:29] offset:32
	v_mov_b32_e32 v10, s46
	ds_read_b128 v[42:45], v10 offset:32
	s_waitcnt vmcnt(0) lgkmcnt(0)
	v_mul_f64 v[10:11], v[40:41], v[44:45]
	v_mul_f64 v[12:13], v[40:41], v[42:43]
	v_fmac_f64_e32 v[10:11], v[38:39], v[42:43]
	v_fma_f64 v[12:13], v[38:39], v[44:45], -v[12:13]
.LBB14_34:                              ;   in Loop: Header=BB14_24 Depth=3
	s_andn2_saveexec_b64 s[38:39], s[38:39]
; %bb.35:                               ;   in Loop: Header=BB14_24 Depth=3
	v_mov_b32_e32 v10, s46
	ds_read_b128 v[10:13], v10 offset:32
; %bb.36:                               ;   in Loop: Header=BB14_24 Depth=3
	s_or_b64 exec, exec, s[38:39]
	v_cmp_ne_u32_e32 vcc, s43, v14
	s_or_b64 s[38:39], s[26:27], vcc
                                        ; implicit-def: $vgpr16_vgpr17
	s_and_saveexec_b64 s[48:49], s[38:39]
	s_xor_b64 s[38:39], exec, s[48:49]
	s_cbranch_execz .LBB14_38
; %bb.37:                               ;   in Loop: Header=BB14_24 Depth=3
	flat_load_dwordx4 v[38:41], v[28:29] offset:48
	v_mov_b32_e32 v14, s46
	ds_read_b128 v[42:45], v14 offset:48
	s_waitcnt vmcnt(0) lgkmcnt(0)
	v_mul_f64 v[14:15], v[40:41], v[44:45]
	v_mul_f64 v[16:17], v[40:41], v[42:43]
	v_fmac_f64_e32 v[14:15], v[38:39], v[42:43]
	v_fma_f64 v[16:17], v[38:39], v[44:45], -v[16:17]
.LBB14_38:                              ;   in Loop: Header=BB14_24 Depth=3
	s_andn2_saveexec_b64 s[38:39], s[38:39]
	s_cbranch_execz .LBB14_23
; %bb.39:                               ;   in Loop: Header=BB14_24 Depth=3
	v_mov_b32_e32 v14, s46
	ds_read_b128 v[14:17], v14 offset:48
	s_branch .LBB14_23
.LBB14_40:                              ;   in Loop: Header=BB14_5 Depth=1
	s_or_b64 exec, exec, s[30:31]
.LBB14_41:                              ;   in Loop: Header=BB14_5 Depth=1
	s_and_saveexec_b64 s[30:31], s[0:1]
	s_cbranch_execz .LBB14_4
; %bb.42:                               ;   in Loop: Header=BB14_5 Depth=1
	v_mad_u64_u32 v[6:7], s[0:1], s6, v33, 0
	ds_read2_b64 v[2:5], v1 offset1:1
	v_mov_b32_e32 v8, v7
	v_mad_u64_u32 v[8:9], s[0:1], s7, v33, v[8:9]
	v_mov_b32_e32 v7, v8
	v_lshl_add_u64 v[6:7], v[6:7], 4, s[4:5]
	s_waitcnt lgkmcnt(0)
	flat_store_dwordx4 v[6:7], v[2:5]
	s_branch .LBB14_4
.LBB14_43:
	s_mov_b64 s[0:1], 0
.LBB14_44:
	s_andn2_b64 vcc, exec, s[0:1]
	s_cbranch_vccnz .LBB14_91
; %bb.45:
	s_andn2_b64 vcc, exec, s[14:15]
	s_cbranch_vccnz .LBB14_91
; %bb.46:
	v_mov_b32_e32 v1, 0x2000
	v_mov_b32_e32 v15, 0
	v_lshl_or_b32 v26, v0, 4, v1
	v_mov_b32_e32 v1, v15
	v_mad_u64_u32 v[16:17], s[0:1], v0, v0, v[0:1]
	v_lshlrev_b32_e32 v14, 10, v0
	s_mov_b64 s[0:1], 0x40200
	v_lshl_add_u64 v[18:19], v[14:15], 0, s[0:1]
	v_or_b32_e32 v14, 0x200, v0
	s_mov_b32 s12, 0
	v_add_u32_e32 v1, 0x201, v0
	s_xor_b64 s[22:23], s[8:9], -1
	s_mov_b64 s[24:25], 0x200
	s_mov_b64 s[26:27], 0x80000
	v_mov_b64_e32 v[20:21], v[14:15]
	s_mov_b64 s[28:29], s[10:11]
	s_branch .LBB14_48
.LBB14_47:                              ;   in Loop: Header=BB14_48 Depth=1
	s_or_b64 exec, exec, s[30:31]
	s_add_u32 s28, s28, 0x2000
	v_lshl_add_u64 v[2:3], v[18:19], 0, s[26:27]
	s_addc_u32 s29, s29, 0
	v_lshl_add_u64 v[16:17], v[16:17], 0, v[18:19]
	v_lshl_add_u64 v[20:21], v[20:21], 0, s[24:25]
	v_add_u32_e32 v1, 0x200, v1
	s_and_b64 vcc, exec, s[2:3]
	v_mov_b64_e32 v[18:19], v[2:3]
	s_mov_b32 s12, s33
	s_waitcnt lgkmcnt(0)
	s_barrier
	s_cbranch_vccnz .LBB14_91
.LBB14_48:                              ; =>This Loop Header: Depth=1
                                        ;     Child Loop BB14_52 Depth 2
                                        ;     Child Loop BB14_65 Depth 2
                                        ;       Child Loop BB14_68 Depth 3
	v_add_u32_e32 v27, s12, v0
	v_cmp_le_i32_e32 vcc, s13, v27
	v_cmp_gt_i32_e64 s[0:1], s13, v27
	s_and_saveexec_b64 s[2:3], s[0:1]
	s_cbranch_execz .LBB14_50
; %bb.49:                               ;   in Loop: Header=BB14_48 Depth=1
	v_mad_u64_u32 v[2:3], s[30:31], s6, v27, 0
	v_mov_b32_e32 v4, v3
	v_mad_u64_u32 v[4:5], s[30:31], s7, v27, v[4:5]
	v_mov_b32_e32 v3, v4
	v_lshl_add_u64 v[2:3], v[2:3], 4, s[4:5]
	flat_load_dwordx4 v[2:5], v[2:3]
	s_waitcnt vmcnt(0) lgkmcnt(0)
	ds_write2_b64 v26, v[2:3], v[4:5] offset1:1
.LBB14_50:                              ;   in Loop: Header=BB14_48 Depth=1
	s_or_b64 exec, exec, s[2:3]
	v_lshlrev_b64 v[2:3], 3, v[16:17]
	v_and_b32_e32 v2, -16, v2
	v_or_b32_e32 v14, s12, v0
	v_lshl_add_u64 v[22:23], s[28:29], 0, v[2:3]
	v_add_u32_e32 v2, 1, v14
	v_mad_u64_u32 v[2:3], s[30:31], v2, v14, 0
	v_lshlrev_b64 v[2:3], 3, v[2:3]
	v_and_b32_e32 v2, -16, v2
	v_lshl_add_u64 v[2:3], s[10:11], 0, v[2:3]
	v_cmp_le_i32_e64 s[2:3], s13, v14
	v_lshl_add_u64 v[24:25], v[14:15], 4, v[2:3]
	s_mov_b32 s33, 0
	s_movk_i32 s38, 0x2000
	s_xor_b64 s[30:31], vcc, -1
	s_waitcnt lgkmcnt(0)
	s_barrier
	s_branch .LBB14_52
.LBB14_51:                              ;   in Loop: Header=BB14_52 Depth=2
	s_or_b64 exec, exec, s[34:35]
	s_add_i32 s33, s33, 1
	s_add_i32 s38, s38, 16
	s_cmpk_eq_i32 s33, 0x200
	v_lshl_add_u64 v[22:23], v[22:23], 0, 16
	s_cbranch_scc1 .LBB14_61
.LBB14_52:                              ;   Parent Loop BB14_48 Depth=1
                                        ; =>  This Inner Loop Header: Depth=2
	v_cmp_ne_u32_e32 vcc, s33, v0
	s_or_b64 s[34:35], s[8:9], vcc
	s_nor_b64 s[36:37], s[34:35], s[2:3]
	s_and_saveexec_b64 s[34:35], s[36:37]
	s_cbranch_execz .LBB14_58
; %bb.53:                               ;   in Loop: Header=BB14_52 Depth=2
	flat_load_dwordx4 v[6:9], v[24:25]
	ds_read_b128 v[2:5], v26
                                        ; implicit-def: $vgpr10_vgpr11
	s_waitcnt vmcnt(0) lgkmcnt(0)
	v_cmp_ngt_f64_e64 s[36:37], |v[6:7]|, |v[8:9]|
	s_and_saveexec_b64 s[40:41], s[36:37]
	s_xor_b64 s[36:37], exec, s[40:41]
	s_cbranch_execz .LBB14_55
; %bb.54:                               ;   in Loop: Header=BB14_52 Depth=2
	v_div_scale_f64 v[10:11], s[40:41], -v[8:9], -v[8:9], v[6:7]
	v_rcp_f64_e32 v[12:13], v[10:11]
	v_div_scale_f64 v[28:29], vcc, v[6:7], -v[8:9], v[6:7]
	v_fma_f64 v[30:31], -v[10:11], v[12:13], 1.0
	v_fmac_f64_e32 v[12:13], v[12:13], v[30:31]
	v_fma_f64 v[30:31], -v[10:11], v[12:13], 1.0
	v_fmac_f64_e32 v[12:13], v[12:13], v[30:31]
	v_mul_f64 v[30:31], v[28:29], v[12:13]
	v_fma_f64 v[10:11], -v[10:11], v[30:31], v[28:29]
	v_div_fmas_f64 v[10:11], v[10:11], v[12:13], v[30:31]
	v_div_fixup_f64 v[12:13], v[10:11], -v[8:9], v[6:7]
	v_fma_f64 v[6:7], v[6:7], v[12:13], -v[8:9]
	v_div_scale_f64 v[8:9], s[40:41], v[6:7], v[6:7], 1.0
	v_rcp_f64_e32 v[10:11], v[8:9]
	s_nop 0
	v_fma_f64 v[28:29], -v[8:9], v[10:11], 1.0
	v_fmac_f64_e32 v[10:11], v[10:11], v[28:29]
	v_fma_f64 v[28:29], -v[8:9], v[10:11], 1.0
	v_fmac_f64_e32 v[10:11], v[10:11], v[28:29]
	v_div_scale_f64 v[28:29], vcc, 1.0, v[6:7], 1.0
	v_mul_f64 v[30:31], v[28:29], v[10:11]
	v_fma_f64 v[8:9], -v[8:9], v[30:31], v[28:29]
	s_nop 1
	v_div_fmas_f64 v[8:9], v[8:9], v[10:11], v[30:31]
	v_div_fixup_f64 v[6:7], v[8:9], v[6:7], 1.0
	v_fma_f64 v[8:9], v[12:13], v[2:3], v[4:5]
	v_fma_f64 v[2:3], v[12:13], v[4:5], -v[2:3]
	v_mul_f64 v[10:11], v[8:9], v[6:7]
	v_mul_f64 v[12:13], v[6:7], v[2:3]
                                        ; implicit-def: $vgpr6_vgpr7
                                        ; implicit-def: $vgpr4_vgpr5
.LBB14_55:                              ;   in Loop: Header=BB14_52 Depth=2
	s_andn2_saveexec_b64 s[36:37], s[36:37]
	s_cbranch_execz .LBB14_57
; %bb.56:                               ;   in Loop: Header=BB14_52 Depth=2
	v_div_scale_f64 v[10:11], s[40:41], v[6:7], v[6:7], -v[8:9]
	v_rcp_f64_e32 v[12:13], v[10:11]
	v_div_scale_f64 v[28:29], vcc, -v[8:9], v[6:7], -v[8:9]
	v_fma_f64 v[30:31], -v[10:11], v[12:13], 1.0
	v_fmac_f64_e32 v[12:13], v[12:13], v[30:31]
	v_fma_f64 v[30:31], -v[10:11], v[12:13], 1.0
	v_fmac_f64_e32 v[12:13], v[12:13], v[30:31]
	v_mul_f64 v[30:31], v[28:29], v[12:13]
	v_fma_f64 v[10:11], -v[10:11], v[30:31], v[28:29]
	v_div_fmas_f64 v[10:11], v[10:11], v[12:13], v[30:31]
	v_div_fixup_f64 v[12:13], v[10:11], v[6:7], -v[8:9]
	v_fma_f64 v[6:7], -v[8:9], v[12:13], v[6:7]
	v_div_scale_f64 v[8:9], s[40:41], v[6:7], v[6:7], 1.0
	v_rcp_f64_e32 v[10:11], v[8:9]
	s_nop 0
	v_fma_f64 v[28:29], -v[8:9], v[10:11], 1.0
	v_fmac_f64_e32 v[10:11], v[10:11], v[28:29]
	v_fma_f64 v[28:29], -v[8:9], v[10:11], 1.0
	v_fmac_f64_e32 v[10:11], v[10:11], v[28:29]
	v_div_scale_f64 v[28:29], vcc, 1.0, v[6:7], 1.0
	v_mul_f64 v[30:31], v[28:29], v[10:11]
	v_fma_f64 v[8:9], -v[8:9], v[30:31], v[28:29]
	s_nop 1
	v_div_fmas_f64 v[8:9], v[8:9], v[10:11], v[30:31]
	v_div_fixup_f64 v[6:7], v[8:9], v[6:7], 1.0
	v_fma_f64 v[8:9], v[12:13], v[4:5], v[2:3]
	v_fma_f64 v[2:3], -v[12:13], v[2:3], v[4:5]
	v_mul_f64 v[10:11], v[6:7], v[8:9]
	v_mul_f64 v[12:13], v[2:3], v[6:7]
.LBB14_57:                              ;   in Loop: Header=BB14_52 Depth=2
	s_or_b64 exec, exec, s[36:37]
	ds_write_b128 v26, v[10:13]
.LBB14_58:                              ;   in Loop: Header=BB14_52 Depth=2
	s_or_b64 exec, exec, s[34:35]
	v_cmp_lt_u32_e32 vcc, s33, v0
	s_waitcnt lgkmcnt(0)
	s_barrier
	s_and_saveexec_b64 s[34:35], vcc
	s_cbranch_execz .LBB14_51
; %bb.59:                               ;   in Loop: Header=BB14_52 Depth=2
	s_add_i32 s36, s12, s33
	s_cmp_lt_i32 s36, s13
	s_cselect_b64 s[36:37], -1, 0
	s_and_b64 s[36:37], s[30:31], s[36:37]
	s_and_b64 exec, exec, s[36:37]
	s_cbranch_execz .LBB14_51
; %bb.60:                               ;   in Loop: Header=BB14_52 Depth=2
	flat_load_dwordx4 v[2:5], v[22:23]
	v_mov_b32_e32 v6, s38
	ds_read_b128 v[6:9], v6
	ds_read_b128 v[10:13], v26
	s_waitcnt vmcnt(0) lgkmcnt(0)
	v_mul_f64 v[28:29], v[4:5], v[8:9]
	v_mul_f64 v[4:5], v[4:5], v[6:7]
	v_fmac_f64_e32 v[28:29], v[2:3], v[6:7]
	v_fma_f64 v[4:5], v[2:3], v[8:9], -v[4:5]
	v_add_f64 v[2:3], v[10:11], -v[28:29]
	v_add_f64 v[4:5], v[12:13], -v[4:5]
	ds_write_b128 v26, v[2:5]
	s_branch .LBB14_51
.LBB14_61:                              ;   in Loop: Header=BB14_48 Depth=1
	s_add_i32 s33, s12, 0x200
	s_cmp_ge_i32 s33, s13
	s_cselect_b64 s[2:3], -1, 0
	s_and_b64 vcc, exec, s[2:3]
	s_waitcnt lgkmcnt(0)
	s_barrier
	s_cbranch_vccnz .LBB14_89
; %bb.62:                               ;   in Loop: Header=BB14_48 Depth=1
	s_mov_b64 s[30:31], 0
	v_mov_b32_e32 v10, v1
	v_mov_b64_e32 v[2:3], v[20:21]
	v_mov_b32_e32 v11, v0
	s_mov_b32 s40, s33
                                        ; implicit-def: $sgpr34_sgpr35
	s_branch .LBB14_65
.LBB14_63:                              ;   in Loop: Header=BB14_65 Depth=2
	v_mad_u64_u32 v[8:9], s[38:39], s6, v12, 0
	v_mov_b32_e32 v14, v9
	v_mad_u64_u32 v[12:13], s[38:39], s7, v12, v[14:15]
	v_mov_b32_e32 v9, v12
	v_lshl_add_u64 v[12:13], v[8:9], 4, s[4:5]
	flat_load_dwordx4 v[22:25], v[12:13]
	s_addk_i32 s40, 0x200
	s_cmp_ge_i32 s40, s13
	s_cselect_b64 s[38:39], -1, 0
	s_andn2_b64 s[34:35], s[34:35], exec
	s_and_b64 s[38:39], s[38:39], exec
	v_lshl_add_u64 v[2:3], v[2:3], 0, s[24:25]
	v_add_u32_e32 v10, 0x200, v10
	s_or_b64 s[34:35], s[34:35], s[38:39]
	s_waitcnt vmcnt(0) lgkmcnt(0)
	v_add_f64 v[6:7], v[22:23], -v[6:7]
	v_add_f64 v[8:9], v[24:25], -v[4:5]
	flat_store_dwordx4 v[12:13], v[6:9]
.LBB14_64:                              ;   in Loop: Header=BB14_65 Depth=2
	s_or_b64 exec, exec, s[36:37]
	s_and_b64 s[36:37], exec, s[34:35]
	s_or_b64 s[30:31], s[36:37], s[30:31]
	s_andn2_b64 exec, exec, s[30:31]
	s_cbranch_execz .LBB14_88
.LBB14_65:                              ;   Parent Loop BB14_48 Depth=1
                                        ; =>  This Loop Header: Depth=2
                                        ;       Child Loop BB14_68 Depth 3
	v_add_u32_e32 v12, s40, v0
	v_cmp_gt_i32_e32 vcc, s13, v12
	s_or_b64 s[34:35], s[34:35], exec
	s_and_saveexec_b64 s[36:37], vcc
	s_cbranch_execz .LBB14_64
; %bb.66:                               ;   in Loop: Header=BB14_65 Depth=2
	v_mad_u64_u32 v[4:5], s[38:39], v2, v10, 0
	v_mov_b32_e32 v6, v5
	v_mad_u64_u32 v[6:7], s[38:39], v3, v10, v[6:7]
	v_mov_b32_e32 v5, v6
	v_lshlrev_b64 v[4:5], 3, v[4:5]
	v_and_b32_e32 v4, -16, v4
	v_lshl_add_u64 v[8:9], s[28:29], 0, v[4:5]
	v_add_u32_e32 v13, 0x1fd, v11
	v_add_u32_e32 v14, 0x1fe, v11
	v_add_u32_e32 v22, 0x1ff, v11
	v_add_u32_e32 v11, 0x200, v11
	v_mov_b64_e32 v[4:5], 0
	s_mov_b32 s41, 0
	s_movk_i32 s42, 0x2000
	v_mov_b64_e32 v[6:7], 0
	s_branch .LBB14_68
.LBB14_67:                              ;   in Loop: Header=BB14_68 Depth=3
	s_or_b64 exec, exec, s[38:39]
	s_add_i32 s41, s41, 4
	s_add_i32 s42, s42, 64
	s_cmpk_eq_i32 s41, 0x200
	v_lshl_add_u64 v[8:9], v[8:9], 0, 64
	s_cbranch_scc1 .LBB14_63
.LBB14_68:                              ;   Parent Loop BB14_48 Depth=1
                                        ;     Parent Loop BB14_65 Depth=2
                                        ; =>    This Inner Loop Header: Depth=3
	v_cmp_ne_u32_e32 vcc, s41, v11
	s_add_i32 s43, s12, s41
	s_or_b64 s[38:39], s[22:23], vcc
	s_and_saveexec_b64 s[44:45], s[38:39]
	s_xor_b64 s[38:39], exec, s[44:45]
	s_cbranch_execz .LBB14_71
; %bb.69:                               ;   in Loop: Header=BB14_68 Depth=3
	s_cmp_ge_i32 s43, s13
	s_cbranch_scc1 .LBB14_71
; %bb.70:                               ;   in Loop: Header=BB14_68 Depth=3
	flat_load_dwordx4 v[28:31], v[8:9]
	v_mov_b32_e32 v23, s42
	ds_read_b128 v[32:35], v23
	s_waitcnt vmcnt(0) lgkmcnt(0)
	v_mul_f64 v[24:25], v[30:31], v[34:35]
	v_mul_f64 v[30:31], v[30:31], v[32:33]
	v_fmac_f64_e32 v[24:25], v[28:29], v[32:33]
	v_fma_f64 v[28:29], v[28:29], v[34:35], -v[30:31]
	v_add_f64 v[6:7], v[6:7], v[24:25]
	v_add_f64 v[4:5], v[4:5], v[28:29]
.LBB14_71:                              ;   in Loop: Header=BB14_68 Depth=3
	s_andn2_saveexec_b64 s[38:39], s[38:39]
	s_cbranch_execz .LBB14_73
; %bb.72:                               ;   in Loop: Header=BB14_68 Depth=3
	v_mov_b32_e32 v23, s42
	ds_read_b128 v[28:31], v23
	s_waitcnt lgkmcnt(0)
	v_add_f64 v[6:7], v[6:7], v[28:29]
	v_add_f64 v[4:5], v[4:5], v[30:31]
.LBB14_73:                              ;   in Loop: Header=BB14_68 Depth=3
	s_or_b64 exec, exec, s[38:39]
	v_cmp_ne_u32_e32 vcc, s41, v22
	s_or_b64 s[38:39], s[22:23], vcc
	s_and_saveexec_b64 s[44:45], s[38:39]
	s_xor_b64 s[38:39], exec, s[44:45]
	s_cbranch_execz .LBB14_76
; %bb.74:                               ;   in Loop: Header=BB14_68 Depth=3
	s_add_i32 s44, s43, 1
	s_cmp_ge_i32 s44, s13
	s_cbranch_scc1 .LBB14_76
; %bb.75:                               ;   in Loop: Header=BB14_68 Depth=3
	flat_load_dwordx4 v[28:31], v[8:9] offset:16
	v_mov_b32_e32 v23, s42
	ds_read_b128 v[32:35], v23 offset:16
	s_waitcnt vmcnt(0) lgkmcnt(0)
	v_mul_f64 v[24:25], v[30:31], v[34:35]
	v_mul_f64 v[30:31], v[30:31], v[32:33]
	v_fmac_f64_e32 v[24:25], v[28:29], v[32:33]
	v_fma_f64 v[28:29], v[28:29], v[34:35], -v[30:31]
	v_add_f64 v[6:7], v[6:7], v[24:25]
	v_add_f64 v[4:5], v[4:5], v[28:29]
.LBB14_76:                              ;   in Loop: Header=BB14_68 Depth=3
	s_andn2_saveexec_b64 s[38:39], s[38:39]
	s_cbranch_execz .LBB14_78
; %bb.77:                               ;   in Loop: Header=BB14_68 Depth=3
	v_mov_b32_e32 v23, s42
	ds_read_b128 v[28:31], v23 offset:16
	s_waitcnt lgkmcnt(0)
	v_add_f64 v[6:7], v[6:7], v[28:29]
	v_add_f64 v[4:5], v[4:5], v[30:31]
.LBB14_78:                              ;   in Loop: Header=BB14_68 Depth=3
	s_or_b64 exec, exec, s[38:39]
	v_cmp_ne_u32_e32 vcc, s41, v14
	s_or_b64 s[38:39], s[22:23], vcc
	s_and_saveexec_b64 s[44:45], s[38:39]
	s_xor_b64 s[38:39], exec, s[44:45]
	s_cbranch_execz .LBB14_81
; %bb.79:                               ;   in Loop: Header=BB14_68 Depth=3
	s_add_i32 s44, s43, 2
	s_cmp_ge_i32 s44, s13
	s_cbranch_scc1 .LBB14_81
; %bb.80:                               ;   in Loop: Header=BB14_68 Depth=3
	flat_load_dwordx4 v[28:31], v[8:9] offset:32
	v_mov_b32_e32 v23, s42
	ds_read_b128 v[32:35], v23 offset:32
	s_waitcnt vmcnt(0) lgkmcnt(0)
	v_mul_f64 v[24:25], v[30:31], v[34:35]
	v_mul_f64 v[30:31], v[30:31], v[32:33]
	v_fmac_f64_e32 v[24:25], v[28:29], v[32:33]
	v_fma_f64 v[28:29], v[28:29], v[34:35], -v[30:31]
	v_add_f64 v[6:7], v[6:7], v[24:25]
	v_add_f64 v[4:5], v[4:5], v[28:29]
.LBB14_81:                              ;   in Loop: Header=BB14_68 Depth=3
	s_andn2_saveexec_b64 s[38:39], s[38:39]
	s_cbranch_execz .LBB14_83
; %bb.82:                               ;   in Loop: Header=BB14_68 Depth=3
	v_mov_b32_e32 v23, s42
	ds_read_b128 v[28:31], v23 offset:32
	s_waitcnt lgkmcnt(0)
	v_add_f64 v[6:7], v[6:7], v[28:29]
	v_add_f64 v[4:5], v[4:5], v[30:31]
.LBB14_83:                              ;   in Loop: Header=BB14_68 Depth=3
	s_or_b64 exec, exec, s[38:39]
	v_cmp_ne_u32_e32 vcc, s41, v13
	s_or_b64 s[38:39], s[22:23], vcc
	s_and_saveexec_b64 s[44:45], s[38:39]
	s_xor_b64 s[38:39], exec, s[44:45]
	s_cbranch_execz .LBB14_86
; %bb.84:                               ;   in Loop: Header=BB14_68 Depth=3
	s_add_i32 s43, s43, 3
	s_cmp_ge_i32 s43, s13
	s_cbranch_scc1 .LBB14_86
; %bb.85:                               ;   in Loop: Header=BB14_68 Depth=3
	flat_load_dwordx4 v[28:31], v[8:9] offset:48
	v_mov_b32_e32 v23, s42
	ds_read_b128 v[32:35], v23 offset:48
	s_waitcnt vmcnt(0) lgkmcnt(0)
	v_mul_f64 v[24:25], v[30:31], v[34:35]
	v_mul_f64 v[30:31], v[30:31], v[32:33]
	v_fmac_f64_e32 v[24:25], v[28:29], v[32:33]
	v_fma_f64 v[28:29], v[28:29], v[34:35], -v[30:31]
	v_add_f64 v[6:7], v[6:7], v[24:25]
	v_add_f64 v[4:5], v[4:5], v[28:29]
.LBB14_86:                              ;   in Loop: Header=BB14_68 Depth=3
	s_andn2_saveexec_b64 s[38:39], s[38:39]
	s_cbranch_execz .LBB14_67
; %bb.87:                               ;   in Loop: Header=BB14_68 Depth=3
	v_mov_b32_e32 v23, s42
	ds_read_b128 v[28:31], v23 offset:48
	s_waitcnt lgkmcnt(0)
	v_add_f64 v[6:7], v[6:7], v[28:29]
	v_add_f64 v[4:5], v[4:5], v[30:31]
	s_branch .LBB14_67
.LBB14_88:                              ;   in Loop: Header=BB14_48 Depth=1
	s_or_b64 exec, exec, s[30:31]
.LBB14_89:                              ;   in Loop: Header=BB14_48 Depth=1
	s_and_saveexec_b64 s[30:31], s[0:1]
	s_cbranch_execz .LBB14_47
; %bb.90:                               ;   in Loop: Header=BB14_48 Depth=1
	v_mad_u64_u32 v[6:7], s[0:1], s6, v27, 0
	ds_read2_b64 v[2:5], v26 offset1:1
	v_mov_b32_e32 v8, v7
	v_mad_u64_u32 v[8:9], s[0:1], s7, v27, v[8:9]
	v_mov_b32_e32 v7, v8
	v_lshl_add_u64 v[6:7], v[6:7], 4, s[4:5]
	s_waitcnt lgkmcnt(0)
	flat_store_dwordx4 v[6:7], v[2:5]
	s_branch .LBB14_47
.LBB14_91:
	s_mov_b64 s[0:1], 0
.LBB14_92:
	s_andn2_b64 vcc, exec, s[0:1]
	s_cbranch_vccnz .LBB14_166
; %bb.93:
	s_mov_b64 s[0:1], -1
	s_and_b64 vcc, exec, s[20:21]
	s_cbranch_vccz .LBB14_132
; %bb.94:
	s_andn2_b64 vcc, exec, s[14:15]
	s_cbranch_vccnz .LBB14_131
; %bb.95:
	s_lshl_b32 s20, s13, 1
	s_or_b32 s12, s20, 1
	s_ashr_i32 s21, s20, 31
	s_add_u32 s16, s16, s18
	s_addc_u32 s17, s17, s19
	s_lshl_b64 s[0:1], s[20:21], 9
	s_add_u32 s44, s0, 0xfffc0200
	s_addc_u32 s45, s1, -1
	s_add_u32 s40, s0, 0xfffbfe00
	s_addc_u32 s41, s1, -1
	s_lshl_b64 s[0:1], s[20:21], 1
	s_add_u32 s18, s0, -6
	v_mov_b32_e32 v1, 0
	s_addc_u32 s19, s1, -1
	v_lshlrev_b32_e32 v14, 4, v0
	v_mov_b32_e32 v15, v1
	s_add_u32 s22, s0, -2
	s_movk_i32 s34, 0xffe0
	v_lshl_add_u64 v[16:17], s[16:17], 0, v[14:15]
	v_or_b32_e32 v18, 0x200, v0
	s_addc_u32 s23, s1, -1
	s_mov_b64 s[24:25], -1
	s_mov_b64 s[26:27], 0
	s_mov_b64 s[28:29], 0x200
	;; [unrolled: 1-line block ×3, first 2 shown]
	s_mov_b32 s35, -1
	s_mov_b64 s[36:37], 0x2000
	s_mov_b64 s[38:39], 0
	;; [unrolled: 1-line block ×4, first 2 shown]
	s_branch .LBB14_97
.LBB14_96:                              ;   in Loop: Header=BB14_97 Depth=1
	s_or_b64 exec, exec, s[46:47]
	s_add_u32 s0, s44, 0xfff80000
	s_addc_u32 s1, s45, -1
	s_add_u32 s26, s26, s44
	s_addc_u32 s27, s27, s45
	s_add_u32 s42, s42, 0xfffffc00
	s_addc_u32 s43, s43, -1
	s_add_u32 s24, s24, 0xfffffe00
	s_addc_u32 s25, s25, -1
	;; [unrolled: 2-line block ×3, first 2 shown]
	s_add_u32 s20, s20, s40
	s_addc_u32 s21, s21, s41
	s_add_u32 s18, s18, 0xfffff800
	s_addc_u32 s19, s19, -1
	s_add_u32 s38, s38, 0xfffffe00
	s_addc_u32 s39, s39, -1
	s_add_u32 s22, s22, 0xfffff800
	v_add_u32_e32 v18, 0x200, v18
	s_addc_u32 s23, s23, -1
	s_and_b64 vcc, exec, s[48:49]
	s_mov_b64 s[40:41], s[44:45]
	s_mov_b64 s[44:45], s[0:1]
	;; [unrolled: 1-line block ×3, first 2 shown]
	s_waitcnt lgkmcnt(0)
	s_barrier
	s_cbranch_vccnz .LBB14_131
.LBB14_97:                              ; =>This Loop Header: Depth=1
                                        ;     Child Loop BB14_101 Depth 2
                                        ;     Child Loop BB14_114 Depth 2
                                        ;       Child Loop BB14_116 Depth 3
	v_add_u32_e32 v15, s46, v0
	v_cmp_le_i32_e32 vcc, s13, v15
	v_cmp_gt_i32_e64 s[0:1], s13, v15
	s_and_saveexec_b64 s[2:3], s[0:1]
	s_cbranch_execz .LBB14_99
; %bb.98:                               ;   in Loop: Header=BB14_97 Depth=1
	v_mad_u64_u32 v[2:3], s[48:49], s6, v15, 0
	v_mov_b32_e32 v4, v3
	v_mad_u64_u32 v[4:5], s[48:49], s7, v15, v[4:5]
	v_mov_b32_e32 v3, v4
	v_lshl_add_u64 v[2:3], v[2:3], 4, s[4:5]
	flat_load_dwordx4 v[2:5], v[2:3]
	s_waitcnt vmcnt(0) lgkmcnt(0)
	ds_write2_b64 v14, v[2:3], v[4:5] offset1:1
.LBB14_99:                              ;   in Loop: Header=BB14_97 Depth=1
	s_or_b64 exec, exec, s[2:3]
	v_or_b32_e32 v5, s46, v0
	v_sub_u32_e32 v2, s12, v5
	v_ashrrev_i32_e32 v6, 31, v2
	v_mad_u64_u32 v[2:3], s[48:49], v2, v5, 0
	v_mov_b32_e32 v4, v3
	v_cmp_le_i32_e64 s[2:3], s13, v5
	v_mad_u64_u32 v[4:5], s[48:49], v6, v5, v[4:5]
	v_mov_b32_e32 v3, v4
	v_lshlrev_b64 v[2:3], 3, v[2:3]
	v_and_b32_e32 v2, -16, v2
	v_lshl_add_u64 v[20:21], s[10:11], 0, v[2:3]
	s_mov_b64 s[48:49], 0
	s_mov_b32 s33, 0
	s_xor_b64 s[50:51], vcc, -1
	s_mov_b64 s[52:53], s[26:27]
	s_mov_b64 s[54:55], s[42:43]
	v_mov_b64_e32 v[22:23], v[16:17]
	s_waitcnt lgkmcnt(0)
	s_barrier
	s_branch .LBB14_101
.LBB14_100:                             ;   in Loop: Header=BB14_101 Depth=2
	s_or_b64 exec, exec, s[56:57]
	s_add_u32 s48, s48, 1
	s_addc_u32 s49, s49, 0
	s_add_u32 s56, s54, -2
	s_addc_u32 s57, s55, -1
	s_add_u32 s52, s52, s54
	s_addc_u32 s53, s53, s55
	s_add_i32 s33, s33, 16
	v_lshl_add_u64 v[22:23], v[22:23], 0, -16
	s_cmpk_eq_i32 s48, 0x200
	s_mov_b64 s[54:55], s[56:57]
	s_cbranch_scc1 .LBB14_110
.LBB14_101:                             ;   Parent Loop BB14_97 Depth=1
                                        ; =>  This Inner Loop Header: Depth=2
	v_cmp_ne_u32_e32 vcc, s48, v0
	s_or_b64 s[56:57], s[8:9], vcc
	s_nor_b64 s[58:59], s[56:57], s[2:3]
	s_and_saveexec_b64 s[56:57], s[58:59]
	s_cbranch_execz .LBB14_107
; %bb.102:                              ;   in Loop: Header=BB14_101 Depth=2
	flat_load_dwordx4 v[2:5], v[20:21]
	ds_read_b128 v[6:9], v14
                                        ; implicit-def: $vgpr10_vgpr11
	s_waitcnt vmcnt(0) lgkmcnt(0)
	v_cmp_ngt_f64_e64 s[58:59], |v[2:3]|, |v[4:5]|
	s_and_saveexec_b64 s[60:61], s[58:59]
	s_xor_b64 s[58:59], exec, s[60:61]
	s_cbranch_execz .LBB14_104
; %bb.103:                              ;   in Loop: Header=BB14_101 Depth=2
	v_div_scale_f64 v[10:11], s[60:61], v[4:5], v[4:5], v[2:3]
	v_rcp_f64_e32 v[12:13], v[10:11]
	v_div_scale_f64 v[24:25], vcc, v[2:3], v[4:5], v[2:3]
	v_fma_f64 v[26:27], -v[10:11], v[12:13], 1.0
	v_fmac_f64_e32 v[12:13], v[12:13], v[26:27]
	v_fma_f64 v[26:27], -v[10:11], v[12:13], 1.0
	v_fmac_f64_e32 v[12:13], v[12:13], v[26:27]
	v_mul_f64 v[26:27], v[24:25], v[12:13]
	v_fma_f64 v[10:11], -v[10:11], v[26:27], v[24:25]
	v_div_fmas_f64 v[10:11], v[10:11], v[12:13], v[26:27]
	v_div_fixup_f64 v[12:13], v[10:11], v[4:5], v[2:3]
	v_fmac_f64_e32 v[4:5], v[2:3], v[12:13]
	v_div_scale_f64 v[2:3], s[60:61], v[4:5], v[4:5], 1.0
	v_rcp_f64_e32 v[10:11], v[2:3]
	s_nop 0
	v_fma_f64 v[24:25], -v[2:3], v[10:11], 1.0
	v_fmac_f64_e32 v[10:11], v[10:11], v[24:25]
	v_fma_f64 v[24:25], -v[2:3], v[10:11], 1.0
	v_fmac_f64_e32 v[10:11], v[10:11], v[24:25]
	v_div_scale_f64 v[24:25], vcc, 1.0, v[4:5], 1.0
	v_mul_f64 v[26:27], v[24:25], v[10:11]
	v_fma_f64 v[2:3], -v[2:3], v[26:27], v[24:25]
	s_nop 1
	v_div_fmas_f64 v[2:3], v[2:3], v[10:11], v[26:27]
	v_div_fixup_f64 v[2:3], v[2:3], v[4:5], 1.0
	v_fma_f64 v[4:5], v[12:13], v[6:7], v[8:9]
	v_mul_f64 v[10:11], v[4:5], v[2:3]
	v_fma_f64 v[4:5], v[12:13], v[8:9], -v[6:7]
	v_mul_f64 v[12:13], v[2:3], v[4:5]
                                        ; implicit-def: $vgpr2_vgpr3
                                        ; implicit-def: $vgpr8_vgpr9
.LBB14_104:                             ;   in Loop: Header=BB14_101 Depth=2
	s_andn2_saveexec_b64 s[58:59], s[58:59]
	s_cbranch_execz .LBB14_106
; %bb.105:                              ;   in Loop: Header=BB14_101 Depth=2
	v_div_scale_f64 v[10:11], s[60:61], v[2:3], v[2:3], v[4:5]
	v_rcp_f64_e32 v[12:13], v[10:11]
	v_div_scale_f64 v[24:25], vcc, v[4:5], v[2:3], v[4:5]
	v_fma_f64 v[26:27], -v[10:11], v[12:13], 1.0
	v_fmac_f64_e32 v[12:13], v[12:13], v[26:27]
	v_fma_f64 v[26:27], -v[10:11], v[12:13], 1.0
	v_fmac_f64_e32 v[12:13], v[12:13], v[26:27]
	v_mul_f64 v[26:27], v[24:25], v[12:13]
	v_fma_f64 v[10:11], -v[10:11], v[26:27], v[24:25]
	v_div_fmas_f64 v[10:11], v[10:11], v[12:13], v[26:27]
	v_div_fixup_f64 v[12:13], v[10:11], v[2:3], v[4:5]
	v_fmac_f64_e32 v[2:3], v[4:5], v[12:13]
	v_div_scale_f64 v[4:5], s[60:61], v[2:3], v[2:3], 1.0
	v_rcp_f64_e32 v[10:11], v[4:5]
	s_nop 0
	v_fma_f64 v[24:25], -v[4:5], v[10:11], 1.0
	v_fmac_f64_e32 v[10:11], v[10:11], v[24:25]
	v_fma_f64 v[24:25], -v[4:5], v[10:11], 1.0
	v_fmac_f64_e32 v[10:11], v[10:11], v[24:25]
	v_div_scale_f64 v[24:25], vcc, 1.0, v[2:3], 1.0
	v_mul_f64 v[26:27], v[24:25], v[10:11]
	v_fma_f64 v[4:5], -v[4:5], v[26:27], v[24:25]
	s_nop 1
	v_div_fmas_f64 v[4:5], v[4:5], v[10:11], v[26:27]
	v_div_fixup_f64 v[2:3], v[4:5], v[2:3], 1.0
	v_fma_f64 v[4:5], v[12:13], v[8:9], v[6:7]
	v_mul_f64 v[10:11], v[2:3], v[4:5]
	v_fma_f64 v[4:5], -v[12:13], v[6:7], v[8:9]
	v_mul_f64 v[12:13], v[4:5], v[2:3]
.LBB14_106:                             ;   in Loop: Header=BB14_101 Depth=2
	s_or_b64 exec, exec, s[58:59]
	ds_write_b128 v14, v[10:13]
.LBB14_107:                             ;   in Loop: Header=BB14_101 Depth=2
	s_or_b64 exec, exec, s[56:57]
	v_cmp_lt_u32_e32 vcc, s48, v0
	s_waitcnt lgkmcnt(0)
	s_barrier
	s_and_saveexec_b64 s[56:57], vcc
	s_cbranch_execz .LBB14_100
; %bb.108:                              ;   in Loop: Header=BB14_101 Depth=2
	s_add_i32 s58, s46, s48
	s_cmp_lt_i32 s58, s13
	s_cselect_b64 s[58:59], -1, 0
	s_and_b64 s[58:59], s[50:51], s[58:59]
	s_and_b64 exec, exec, s[58:59]
	s_cbranch_execz .LBB14_100
; %bb.109:                              ;   in Loop: Header=BB14_101 Depth=2
	s_lshl_b64 s[58:59], s[52:53], 3
	s_and_b32 s58, s58, -16
	v_lshl_add_u64 v[2:3], v[22:23], 0, s[58:59]
	flat_load_dwordx4 v[2:5], v[2:3]
	v_mov_b32_e32 v6, s33
	ds_read_b128 v[6:9], v6
	ds_read_b128 v[10:13], v14
	s_waitcnt vmcnt(0) lgkmcnt(0)
	v_mul_f64 v[24:25], v[4:5], v[8:9]
	v_mul_f64 v[8:9], v[2:3], v[8:9]
	v_fma_f64 v[2:3], v[2:3], v[6:7], -v[24:25]
	v_fmac_f64_e32 v[8:9], v[4:5], v[6:7]
	v_add_f64 v[2:3], v[10:11], -v[2:3]
	v_add_f64 v[4:5], v[12:13], -v[8:9]
	ds_write_b128 v14, v[2:5]
	s_branch .LBB14_100
.LBB14_110:                             ;   in Loop: Header=BB14_97 Depth=1
	s_add_u32 s2, s46, 0x200
	s_addc_u32 s3, s47, 0
	s_cmp_ge_i32 s2, s13
	s_cselect_b64 s[48:49], -1, 0
	s_and_b64 vcc, exec, s[48:49]
	s_waitcnt lgkmcnt(0)
	s_barrier
	s_cbranch_vccnz .LBB14_129
; %bb.111:                              ;   in Loop: Header=BB14_97 Depth=1
	v_ashrrev_i32_e32 v19, 31, v18
	v_lshl_add_u64 v[2:3], s[24:25], 0, v[18:19]
	v_lshl_add_u64 v[4:5], s[38:39], 0, v[18:19]
	s_mov_b32 s33, s2
	v_lshl_add_u64 v[2:3], v[2:3], 4, s[16:17]
	v_lshl_add_u64 v[4:5], v[4:5], 4, s[16:17]
	s_mov_b64 s[50:51], 0
	v_mov_b64_e32 v[6:7], v[0:1]
                                        ; implicit-def: $sgpr52_sgpr53
	s_branch .LBB14_114
.LBB14_112:                             ;   in Loop: Header=BB14_114 Depth=2
	v_mad_u64_u32 v[12:13], s[56:57], s6, v19, 0
	v_mov_b32_e32 v20, v13
	v_mad_u64_u32 v[20:21], s[56:57], s7, v19, v[20:21]
	v_mov_b32_e32 v13, v20
	v_lshl_add_u64 v[24:25], v[12:13], 4, s[4:5]
	flat_load_dwordx4 v[20:23], v[24:25]
	s_addk_i32 s33, 0x200
	s_cmp_ge_i32 s33, s13
	s_cselect_b64 s[56:57], -1, 0
	s_andn2_b64 s[52:53], s[52:53], exec
	s_and_b64 s[56:57], s[56:57], exec
	v_lshl_add_u64 v[2:3], v[2:3], 0, s[36:37]
	v_lshl_add_u64 v[4:5], v[4:5], 0, s[36:37]
	s_or_b64 s[52:53], s[52:53], s[56:57]
	s_waitcnt vmcnt(0) lgkmcnt(0)
	v_add_f64 v[10:11], v[20:21], -v[10:11]
	v_add_f64 v[12:13], v[22:23], -v[8:9]
	flat_store_dwordx4 v[24:25], v[10:13]
.LBB14_113:                             ;   in Loop: Header=BB14_114 Depth=2
	s_or_b64 exec, exec, s[54:55]
	s_and_b64 s[54:55], exec, s[52:53]
	s_or_b64 s[50:51], s[54:55], s[50:51]
	s_andn2_b64 exec, exec, s[50:51]
	s_cbranch_execz .LBB14_128
.LBB14_114:                             ;   Parent Loop BB14_97 Depth=1
                                        ; =>  This Loop Header: Depth=2
                                        ;       Child Loop BB14_116 Depth 3
	v_add_u32_e32 v19, s33, v0
	v_cmp_gt_i32_e32 vcc, s13, v19
	s_or_b64 s[52:53], s[52:53], exec
	s_and_saveexec_b64 s[54:55], vcc
	s_cbranch_execz .LBB14_113
; %bb.115:                              ;   in Loop: Header=BB14_114 Depth=2
	v_lshl_add_u64 v[12:13], v[6:7], 0, s[30:31]
	v_lshl_add_u64 v[6:7], v[6:7], 0, s[28:29]
	v_mov_b64_e32 v[8:9], 0
	s_mov_b64 s[56:57], 0
	s_mov_b32 s47, 0
	s_mov_b64 s[58:59], s[26:27]
	s_mov_b64 s[62:63], s[22:23]
	v_mov_b64_e32 v[20:21], v[4:5]
	s_mov_b64 s[60:61], s[20:21]
	s_mov_b64 s[64:65], s[18:19]
	v_mov_b64_e32 v[22:23], v[2:3]
	v_mov_b64_e32 v[10:11], 0
.LBB14_116:                             ;   Parent Loop BB14_97 Depth=1
                                        ;     Parent Loop BB14_114 Depth=2
                                        ; =>    This Inner Loop Header: Depth=3
	v_cmp_ne_u32_e32 vcc, s56, v6
	s_xor_b64 s[66:67], s[8:9], -1
	s_add_u32 s70, s46, s56
	s_or_b64 s[68:69], s[66:67], vcc
	s_and_saveexec_b64 s[72:73], s[68:69]
	s_xor_b64 s[68:69], exec, s[72:73]
	s_cbranch_execz .LBB14_119
; %bb.117:                              ;   in Loop: Header=BB14_116 Depth=3
	s_cmp_ge_i32 s70, s13
	s_cbranch_scc1 .LBB14_119
; %bb.118:                              ;   in Loop: Header=BB14_116 Depth=3
	s_lshl_b64 s[72:73], s[58:59], 3
	s_and_b32 s72, s72, -16
	v_lshl_add_u64 v[24:25], v[20:21], 0, s[72:73]
	flat_load_dwordx4 v[24:27], v[24:25]
	v_mov_b32_e32 v13, s47
	ds_read_b128 v[28:31], v13
	s_waitcnt vmcnt(0) lgkmcnt(0)
	v_mul_f64 v[32:33], v[26:27], v[30:31]
	v_mul_f64 v[30:31], v[24:25], v[30:31]
	v_fma_f64 v[24:25], v[24:25], v[28:29], -v[32:33]
	v_fmac_f64_e32 v[30:31], v[26:27], v[28:29]
	v_add_f64 v[10:11], v[10:11], v[24:25]
	v_add_f64 v[8:9], v[8:9], v[30:31]
.LBB14_119:                             ;   in Loop: Header=BB14_116 Depth=3
	s_andn2_saveexec_b64 s[68:69], s[68:69]
	s_cbranch_execz .LBB14_121
; %bb.120:                              ;   in Loop: Header=BB14_116 Depth=3
	v_mov_b32_e32 v13, s47
	ds_read_b128 v[24:27], v13
	s_waitcnt lgkmcnt(0)
	v_add_f64 v[10:11], v[10:11], v[24:25]
	v_add_f64 v[8:9], v[8:9], v[26:27]
.LBB14_121:                             ;   in Loop: Header=BB14_116 Depth=3
	s_or_b64 exec, exec, s[68:69]
	v_cmp_ne_u32_e32 vcc, s56, v12
	s_or_b64 s[66:67], s[66:67], vcc
	s_and_saveexec_b64 s[68:69], s[66:67]
	s_xor_b64 s[66:67], exec, s[68:69]
	s_cbranch_execz .LBB14_124
; %bb.122:                              ;   in Loop: Header=BB14_116 Depth=3
	s_add_i32 s70, s70, 1
	s_cmp_ge_i32 s70, s13
	s_cbranch_scc1 .LBB14_124
; %bb.123:                              ;   in Loop: Header=BB14_116 Depth=3
	s_lshl_b64 s[68:69], s[60:61], 3
	s_and_b32 s68, s68, -16
	v_lshl_add_u64 v[24:25], v[22:23], 0, s[68:69]
	flat_load_dwordx4 v[24:27], v[24:25]
	v_mov_b32_e32 v13, s47
	ds_read_b128 v[28:31], v13 offset:16
	s_waitcnt vmcnt(0) lgkmcnt(0)
	v_mul_f64 v[32:33], v[26:27], v[30:31]
	v_mul_f64 v[30:31], v[24:25], v[30:31]
	v_fma_f64 v[24:25], v[24:25], v[28:29], -v[32:33]
	v_fmac_f64_e32 v[30:31], v[26:27], v[28:29]
	v_add_f64 v[10:11], v[10:11], v[24:25]
	v_add_f64 v[8:9], v[8:9], v[30:31]
.LBB14_124:                             ;   in Loop: Header=BB14_116 Depth=3
	s_andn2_saveexec_b64 s[66:67], s[66:67]
	s_cbranch_execz .LBB14_126
; %bb.125:                              ;   in Loop: Header=BB14_116 Depth=3
	v_mov_b32_e32 v13, s47
	ds_read_b128 v[24:27], v13 offset:16
	s_waitcnt lgkmcnt(0)
	v_add_f64 v[10:11], v[10:11], v[24:25]
	v_add_f64 v[8:9], v[8:9], v[26:27]
.LBB14_126:                             ;   in Loop: Header=BB14_116 Depth=3
	s_or_b64 exec, exec, s[66:67]
	s_add_u32 s56, s56, 2
	s_addc_u32 s57, s57, 0
	s_add_u32 s66, s64, -8
	s_addc_u32 s67, s65, -1
	s_add_u32 s60, s60, s64
	s_addc_u32 s61, s61, s65
	s_add_i32 s47, s47, 32
	s_add_u32 s64, s62, -8
	s_addc_u32 s65, s63, -1
	s_add_u32 s58, s58, s62
	s_addc_u32 s59, s59, s63
	v_lshl_add_u64 v[22:23], v[22:23], 0, s[34:35]
	s_cmpk_eq_i32 s56, 0x200
	v_lshl_add_u64 v[20:21], v[20:21], 0, s[34:35]
	s_cbranch_scc1 .LBB14_112
; %bb.127:                              ;   in Loop: Header=BB14_116 Depth=3
	s_mov_b64 s[62:63], s[64:65]
	s_mov_b64 s[64:65], s[66:67]
	s_branch .LBB14_116
.LBB14_128:                             ;   in Loop: Header=BB14_97 Depth=1
	s_or_b64 exec, exec, s[50:51]
.LBB14_129:                             ;   in Loop: Header=BB14_97 Depth=1
	s_and_saveexec_b64 s[46:47], s[0:1]
	s_cbranch_execz .LBB14_96
; %bb.130:                              ;   in Loop: Header=BB14_97 Depth=1
	v_mad_u64_u32 v[6:7], s[0:1], s6, v15, 0
	ds_read2_b64 v[2:5], v14 offset1:1
	v_mov_b32_e32 v8, v7
	v_mad_u64_u32 v[8:9], s[0:1], s7, v15, v[8:9]
	v_mov_b32_e32 v7, v8
	v_lshl_add_u64 v[6:7], v[6:7], 4, s[4:5]
	s_waitcnt lgkmcnt(0)
	flat_store_dwordx4 v[6:7], v[2:5]
	s_branch .LBB14_96
.LBB14_131:
	s_mov_b64 s[0:1], 0
.LBB14_132:
	s_andn2_b64 vcc, exec, s[0:1]
	s_cbranch_vccnz .LBB14_166
; %bb.133:
	s_andn2_b64 vcc, exec, s[14:15]
	s_cbranch_vccnz .LBB14_166
; %bb.134:
	v_mov_b32_e32 v1, 0x4000
	v_mov_b32_e32 v15, 0
	s_movk_i32 s18, 0xfe00
	s_add_i32 s37, s13, 0xfffffe00
	v_lshl_or_b32 v28, v0, 4, v1
	s_mov_b32 s33, 0
	s_mov_b32 s36, s13
	v_mov_b32_e32 v1, v15
	s_mov_b64 s[12:13], 0xfffffdff
	s_mov_b64 s[14:15], 0xfffffe00
	s_xor_b64 s[16:17], s[8:9], -1
	s_mov_b32 s19, -1
	s_branch .LBB14_136
.LBB14_135:                             ;   in Loop: Header=BB14_136 Depth=1
	s_or_b64 exec, exec, s[20:21]
	s_add_u32 s36, s36, 0xfffffe00
	s_addc_u32 s33, s33, -1
	s_and_b64 vcc, exec, s[2:3]
	s_mov_b32 s37, s38
	s_waitcnt lgkmcnt(0)
	s_barrier
	s_cbranch_vccnz .LBB14_166
.LBB14_136:                             ; =>This Loop Header: Depth=1
                                        ;     Child Loop BB14_140 Depth 2
                                        ;     Child Loop BB14_152 Depth 2
                                        ;       Child Loop BB14_155 Depth 3
	v_add_u32_e32 v16, s37, v0
	v_cmp_gt_i32_e32 vcc, 0, v16
	v_cmp_lt_i32_e64 s[0:1], -1, v16
	v_mov_b32_e32 v17, v15
	s_and_saveexec_b64 s[2:3], s[0:1]
	s_cbranch_execz .LBB14_138
; %bb.137:                              ;   in Loop: Header=BB14_136 Depth=1
	v_mad_u64_u32 v[2:3], s[20:21], s6, v16, 0
	v_mov_b32_e32 v4, v3
	v_mad_u64_u32 v[4:5], s[20:21], s7, v16, v[4:5]
	v_mov_b32_e32 v3, v4
	v_lshl_add_u64 v[2:3], v[2:3], 4, s[4:5]
	flat_load_dwordx4 v[2:5], v[2:3]
	s_waitcnt vmcnt(0) lgkmcnt(0)
	ds_write2_b64 v28, v[2:3], v[4:5] offset1:1
.LBB14_138:                             ;   in Loop: Header=BB14_136 Depth=1
	s_or_b64 exec, exec, s[2:3]
	v_add_u32_e32 v4, 1, v16
	v_ashrrev_i32_e32 v3, 31, v16
	v_mov_b32_e32 v2, v16
	v_mad_u64_u32 v[4:5], s[2:3], v16, v4, 0
	v_lshl_add_u64 v[18:19], v[2:3], 4, s[10:11]
	v_lshlrev_b64 v[2:3], 3, v[4:5]
	v_lshl_add_u64 v[6:7], v[16:17], 4, s[10:11]
	v_and_b32_e32 v2, -16, v2
	s_or_b64 s[2:3], s[8:9], vcc
	v_lshl_add_u64 v[20:21], v[6:7], 0, v[2:3]
	s_movk_i32 s24, 0x1ff
	s_movk_i32 s25, 0x5ff0
	s_xor_b64 s[20:21], s[2:3], -1
	s_waitcnt lgkmcnt(0)
	s_barrier
	s_branch .LBB14_140
.LBB14_139:                             ;   in Loop: Header=BB14_140 Depth=2
	s_or_b64 exec, exec, s[2:3]
	s_add_i32 s24, s24, -1
	s_add_i32 s25, s25, -16
	s_cmp_eq_u32 s24, -1
	s_cbranch_scc1 .LBB14_148
.LBB14_140:                             ;   Parent Loop BB14_136 Depth=1
                                        ; =>  This Inner Loop Header: Depth=2
	v_cmp_eq_u32_e32 vcc, s24, v0
	s_and_b64 s[22:23], vcc, s[20:21]
	s_and_saveexec_b64 s[2:3], s[22:23]
	s_cbranch_execz .LBB14_146
; %bb.141:                              ;   in Loop: Header=BB14_140 Depth=2
	flat_load_dwordx4 v[2:5], v[20:21]
	ds_read_b128 v[6:9], v28
                                        ; implicit-def: $vgpr10_vgpr11
	s_waitcnt vmcnt(0) lgkmcnt(0)
	v_cmp_ngt_f64_e64 s[22:23], |v[2:3]|, |v[4:5]|
	s_and_saveexec_b64 s[26:27], s[22:23]
	s_xor_b64 s[22:23], exec, s[26:27]
	s_cbranch_execz .LBB14_143
; %bb.142:                              ;   in Loop: Header=BB14_140 Depth=2
	v_div_scale_f64 v[10:11], s[26:27], v[4:5], v[4:5], v[2:3]
	v_rcp_f64_e32 v[12:13], v[10:11]
	v_div_scale_f64 v[22:23], vcc, v[2:3], v[4:5], v[2:3]
	v_fma_f64 v[24:25], -v[10:11], v[12:13], 1.0
	v_fmac_f64_e32 v[12:13], v[12:13], v[24:25]
	v_fma_f64 v[24:25], -v[10:11], v[12:13], 1.0
	v_fmac_f64_e32 v[12:13], v[12:13], v[24:25]
	v_mul_f64 v[24:25], v[22:23], v[12:13]
	v_fma_f64 v[10:11], -v[10:11], v[24:25], v[22:23]
	v_div_fmas_f64 v[10:11], v[10:11], v[12:13], v[24:25]
	v_div_fixup_f64 v[12:13], v[10:11], v[4:5], v[2:3]
	v_fmac_f64_e32 v[4:5], v[2:3], v[12:13]
	v_div_scale_f64 v[2:3], s[26:27], v[4:5], v[4:5], 1.0
	v_rcp_f64_e32 v[10:11], v[2:3]
	s_nop 0
	v_fma_f64 v[22:23], -v[2:3], v[10:11], 1.0
	v_fmac_f64_e32 v[10:11], v[10:11], v[22:23]
	v_fma_f64 v[22:23], -v[2:3], v[10:11], 1.0
	v_fmac_f64_e32 v[10:11], v[10:11], v[22:23]
	v_div_scale_f64 v[22:23], vcc, 1.0, v[4:5], 1.0
	v_mul_f64 v[24:25], v[22:23], v[10:11]
	v_fma_f64 v[2:3], -v[2:3], v[24:25], v[22:23]
	s_nop 1
	v_div_fmas_f64 v[2:3], v[2:3], v[10:11], v[24:25]
	v_div_fixup_f64 v[2:3], v[2:3], v[4:5], 1.0
	v_fma_f64 v[4:5], v[12:13], v[6:7], v[8:9]
	v_mul_f64 v[10:11], v[4:5], v[2:3]
	v_fma_f64 v[4:5], v[12:13], v[8:9], -v[6:7]
	v_mul_f64 v[12:13], v[2:3], v[4:5]
                                        ; implicit-def: $vgpr2_vgpr3
                                        ; implicit-def: $vgpr8_vgpr9
.LBB14_143:                             ;   in Loop: Header=BB14_140 Depth=2
	s_andn2_saveexec_b64 s[22:23], s[22:23]
	s_cbranch_execz .LBB14_145
; %bb.144:                              ;   in Loop: Header=BB14_140 Depth=2
	v_div_scale_f64 v[10:11], s[26:27], v[2:3], v[2:3], v[4:5]
	v_rcp_f64_e32 v[12:13], v[10:11]
	v_div_scale_f64 v[22:23], vcc, v[4:5], v[2:3], v[4:5]
	v_fma_f64 v[24:25], -v[10:11], v[12:13], 1.0
	v_fmac_f64_e32 v[12:13], v[12:13], v[24:25]
	v_fma_f64 v[24:25], -v[10:11], v[12:13], 1.0
	v_fmac_f64_e32 v[12:13], v[12:13], v[24:25]
	v_mul_f64 v[24:25], v[22:23], v[12:13]
	v_fma_f64 v[10:11], -v[10:11], v[24:25], v[22:23]
	v_div_fmas_f64 v[10:11], v[10:11], v[12:13], v[24:25]
	v_div_fixup_f64 v[12:13], v[10:11], v[2:3], v[4:5]
	v_fmac_f64_e32 v[2:3], v[4:5], v[12:13]
	v_div_scale_f64 v[4:5], s[26:27], v[2:3], v[2:3], 1.0
	v_rcp_f64_e32 v[10:11], v[4:5]
	s_nop 0
	v_fma_f64 v[22:23], -v[4:5], v[10:11], 1.0
	v_fmac_f64_e32 v[10:11], v[10:11], v[22:23]
	v_fma_f64 v[22:23], -v[4:5], v[10:11], 1.0
	v_fmac_f64_e32 v[10:11], v[10:11], v[22:23]
	v_div_scale_f64 v[22:23], vcc, 1.0, v[2:3], 1.0
	v_mul_f64 v[24:25], v[22:23], v[10:11]
	v_fma_f64 v[4:5], -v[4:5], v[24:25], v[22:23]
	s_nop 1
	v_div_fmas_f64 v[4:5], v[4:5], v[10:11], v[24:25]
	v_div_fixup_f64 v[2:3], v[4:5], v[2:3], 1.0
	v_fma_f64 v[4:5], v[12:13], v[8:9], v[6:7]
	v_mul_f64 v[10:11], v[2:3], v[4:5]
	v_fma_f64 v[4:5], -v[12:13], v[6:7], v[8:9]
	v_mul_f64 v[12:13], v[4:5], v[2:3]
.LBB14_145:                             ;   in Loop: Header=BB14_140 Depth=2
	s_or_b64 exec, exec, s[22:23]
	ds_write_b128 v28, v[10:13]
.LBB14_146:                             ;   in Loop: Header=BB14_140 Depth=2
	s_or_b64 exec, exec, s[2:3]
	s_add_i32 s23, s36, s24
	s_add_i32 s22, s23, 0xfffffe00
	v_or_b32_e32 v2, s22, v16
	v_cmp_gt_u32_e32 vcc, s24, v0
	v_cmp_lt_i32_e64 s[2:3], -1, v2
	s_and_b64 s[26:27], vcc, s[2:3]
	s_waitcnt lgkmcnt(0)
	s_barrier
	s_and_saveexec_b64 s[2:3], s[26:27]
	s_cbranch_execz .LBB14_139
; %bb.147:                              ;   in Loop: Header=BB14_140 Depth=2
	s_add_i32 s26, s23, 0xfffffe01
	s_mul_hi_u32 s23, s26, s22
	s_mul_i32 s22, s26, s22
	s_lshl_b64 s[22:23], s[22:23], 3
	s_and_b32 s22, s22, -16
	v_lshl_add_u64 v[2:3], v[18:19], 0, s[22:23]
	flat_load_dwordx4 v[2:5], v[2:3]
	v_mov_b32_e32 v6, s25
	ds_read_b128 v[6:9], v6
	ds_read_b128 v[10:13], v28
	s_waitcnt vmcnt(0) lgkmcnt(0)
	v_mul_f64 v[22:23], v[4:5], v[8:9]
	v_mul_f64 v[8:9], v[2:3], v[8:9]
	v_fma_f64 v[2:3], v[2:3], v[6:7], -v[22:23]
	v_fmac_f64_e32 v[8:9], v[4:5], v[6:7]
	v_add_f64 v[2:3], v[10:11], -v[2:3]
	v_add_f64 v[4:5], v[12:13], -v[8:9]
	ds_write_b128 v28, v[2:5]
	s_branch .LBB14_139
.LBB14_148:                             ;   in Loop: Header=BB14_136 Depth=1
	s_add_i32 s38, s37, 0xfffffe00
	s_cmp_lt_i32 s37, 1
	s_cselect_b64 s[2:3], -1, 0
	s_and_b64 vcc, exec, s[2:3]
	s_waitcnt lgkmcnt(0)
	s_barrier
	s_cbranch_vccnz .LBB14_164
; %bb.149:                              ;   in Loop: Header=BB14_136 Depth=1
	s_mov_b64 s[20:21], 0
	v_mov_b64_e32 v[10:11], v[0:1]
	s_mov_b32 s39, s38
                                        ; implicit-def: $sgpr22_sgpr23
	s_branch .LBB14_152
.LBB14_150:                             ;   in Loop: Header=BB14_152 Depth=2
	v_mad_u64_u32 v[2:3], s[26:27], s6, v14, 0
	v_mov_b32_e32 v4, v3
	v_mad_u64_u32 v[4:5], s[26:27], s7, v14, v[4:5]
	v_mov_b32_e32 v3, v4
	v_lshl_add_u64 v[6:7], v[2:3], 4, s[4:5]
	flat_load_dwordx4 v[2:5], v[6:7]
	s_add_i32 s28, s39, 0xfffffe00
	s_cmp_lt_i32 s39, 1
	s_cselect_b64 s[26:27], -1, 0
	s_andn2_b64 s[22:23], s[22:23], exec
	s_and_b64 s[26:27], s[26:27], exec
	v_lshl_add_u64 v[10:11], v[10:11], 0, s[18:19]
	s_or_b64 s[22:23], s[22:23], s[26:27]
	s_mov_b32 s39, s28
	s_waitcnt vmcnt(0) lgkmcnt(0)
	v_add_f64 v[2:3], v[2:3], -v[18:19]
	v_add_f64 v[4:5], v[4:5], -v[12:13]
	flat_store_dwordx4 v[6:7], v[2:5]
.LBB14_151:                             ;   in Loop: Header=BB14_152 Depth=2
	s_or_b64 exec, exec, s[24:25]
	s_and_b64 s[24:25], exec, s[22:23]
	s_or_b64 s[20:21], s[24:25], s[20:21]
	s_andn2_b64 exec, exec, s[20:21]
	s_cbranch_execz .LBB14_163
.LBB14_152:                             ;   Parent Loop BB14_136 Depth=1
                                        ; =>  This Loop Header: Depth=2
                                        ;       Child Loop BB14_155 Depth 3
	v_add_u32_e32 v14, s39, v0
	v_cmp_lt_i32_e32 vcc, -1, v14
	s_or_b64 s[22:23], s[22:23], exec
	s_and_saveexec_b64 s[24:25], vcc
	s_cbranch_execz .LBB14_151
; %bb.153:                              ;   in Loop: Header=BB14_152 Depth=2
	v_lshl_add_u64 v[20:21], v[14:15], 4, s[10:11]
	v_lshl_add_u64 v[22:23], v[10:11], 0, s[12:13]
	;; [unrolled: 1-line block ×3, first 2 shown]
	v_mov_b64_e32 v[12:13], 0
	s_movk_i32 s40, 0x4000
	s_mov_b64 s[26:27], 0
	v_mov_b64_e32 v[18:19], 0
	s_branch .LBB14_155
.LBB14_154:                             ;   in Loop: Header=BB14_155 Depth=3
	s_or_b64 exec, exec, s[28:29]
	s_add_i32 s40, s40, 32
	s_add_u32 s26, s26, 2
	s_waitcnt lgkmcnt(0)
	v_add_f64 v[4:5], v[12:13], v[4:5]
	v_add_f64 v[2:3], v[18:19], v[2:3]
	s_addc_u32 s27, s27, 0
	v_add_f64 v[12:13], v[4:5], v[8:9]
	s_cmpk_eq_i32 s26, 0x200
	v_add_f64 v[18:19], v[2:3], v[6:7]
	s_cbranch_scc1 .LBB14_150
.LBB14_155:                             ;   Parent Loop BB14_136 Depth=1
                                        ;     Parent Loop BB14_152 Depth=2
                                        ; =>    This Inner Loop Header: Depth=3
	v_cmp_ne_u32_e32 vcc, s26, v24
	s_or_b64 s[34:35], s[16:17], vcc
                                        ; implicit-def: $vgpr4_vgpr5
                                        ; implicit-def: $sgpr28_sgpr29
                                        ; implicit-def: $sgpr30_sgpr31
	s_and_saveexec_b64 s[42:43], s[34:35]
	s_xor_b64 s[34:35], exec, s[42:43]
	s_cbranch_execz .LBB14_157
; %bb.156:                              ;   in Loop: Header=BB14_155 Depth=3
	s_add_u32 s28, s36, s26
	s_addc_u32 s29, s33, s27
	s_add_u32 s30, s28, 0xfffffe01
	s_addc_u32 s31, s29, 0
	s_add_u32 s41, s37, s26
	s_addc_u32 s42, 0, s27
	s_mul_i32 s42, s30, s42
	s_mul_hi_u32 s43, s30, s41
	s_add_i32 s43, s43, s42
	s_mul_i32 s42, s30, s41
	s_lshl_b64 s[42:43], s[42:43], 3
	s_and_b32 s42, s42, -16
	v_lshl_add_u64 v[2:3], v[20:21], 0, s[42:43]
	flat_load_dwordx4 v[6:9], v[2:3]
	v_mov_b32_e32 v2, s40
	ds_read_b128 v[30:33], v2
	s_waitcnt vmcnt(0) lgkmcnt(0)
	v_mul_f64 v[2:3], v[8:9], v[32:33]
	v_mul_f64 v[4:5], v[6:7], v[32:33]
	v_fma_f64 v[2:3], v[6:7], v[30:31], -v[2:3]
	v_fmac_f64_e32 v[4:5], v[8:9], v[30:31]
.LBB14_157:                             ;   in Loop: Header=BB14_155 Depth=3
	s_or_saveexec_b64 s[34:35], s[34:35]
	v_mov_b64_e32 v[6:7], s[30:31]
	v_mov_b64_e32 v[26:27], s[28:29]
	s_xor_b64 exec, exec, s[34:35]
	s_cbranch_execz .LBB14_159
; %bb.158:                              ;   in Loop: Header=BB14_155 Depth=3
	v_mov_b32_e32 v2, s40
	ds_read_b128 v[2:5], v2
	s_add_u32 s28, s36, s26
	s_addc_u32 s29, s33, s27
	s_add_u32 s30, s28, 0xfffffe01
	s_addc_u32 s31, s29, 0
	v_mov_b64_e32 v[6:7], s[30:31]
	v_mov_b64_e32 v[26:27], s[28:29]
.LBB14_159:                             ;   in Loop: Header=BB14_155 Depth=3
	s_or_b64 exec, exec, s[34:35]
	v_cmp_ne_u32_e32 vcc, s26, v22
	s_or_b64 s[28:29], s[16:17], vcc
                                        ; implicit-def: $vgpr8_vgpr9
	s_and_saveexec_b64 s[30:31], s[28:29]
	s_xor_b64 s[28:29], exec, s[30:31]
	s_cbranch_execz .LBB14_161
; %bb.160:                              ;   in Loop: Header=BB14_155 Depth=3
	v_add_u32_e32 v7, 0xfffffe02, v26
	v_mad_u64_u32 v[6:7], s[30:31], v7, v6, 0
	v_lshlrev_b64 v[6:7], 3, v[6:7]
	v_and_b32_e32 v6, -16, v6
	v_lshl_add_u64 v[6:7], v[20:21], 0, v[6:7]
	flat_load_dwordx4 v[30:33], v[6:7]
	v_mov_b32_e32 v6, s40
	ds_read_b128 v[34:37], v6 offset:16
	s_waitcnt vmcnt(0) lgkmcnt(0)
	v_mul_f64 v[6:7], v[32:33], v[36:37]
	v_mul_f64 v[8:9], v[30:31], v[36:37]
	v_fma_f64 v[6:7], v[30:31], v[34:35], -v[6:7]
	v_fmac_f64_e32 v[8:9], v[32:33], v[34:35]
.LBB14_161:                             ;   in Loop: Header=BB14_155 Depth=3
	s_andn2_saveexec_b64 s[28:29], s[28:29]
	s_cbranch_execz .LBB14_154
; %bb.162:                              ;   in Loop: Header=BB14_155 Depth=3
	v_mov_b32_e32 v6, s40
	ds_read_b128 v[6:9], v6 offset:16
	s_branch .LBB14_154
.LBB14_163:                             ;   in Loop: Header=BB14_136 Depth=1
	s_or_b64 exec, exec, s[20:21]
.LBB14_164:                             ;   in Loop: Header=BB14_136 Depth=1
	s_and_saveexec_b64 s[20:21], s[0:1]
	s_cbranch_execz .LBB14_135
; %bb.165:                              ;   in Loop: Header=BB14_136 Depth=1
	v_mad_u64_u32 v[6:7], s[0:1], s6, v16, 0
	ds_read2_b64 v[2:5], v28 offset1:1
	v_mov_b32_e32 v8, v7
	v_mad_u64_u32 v[8:9], s[0:1], s7, v16, v[8:9]
	v_mov_b32_e32 v7, v8
	v_lshl_add_u64 v[6:7], v[6:7], 4, s[4:5]
	s_waitcnt lgkmcnt(0)
	flat_store_dwordx4 v[6:7], v[2:5]
	s_branch .LBB14_135
.LBB14_166:
	s_endpgm
	.section	.rodata,"a",@progbits
	.p2align	6, 0x0
	.amdhsa_kernel _ZL19rocblas_tpsv_kernelILb1ELi512EPKPK19rocblas_complex_numIdEPKPS1_Ev18rocblas_operation_bbiT1_llT2_lll
		.amdhsa_group_segment_fixed_size 32768
		.amdhsa_private_segment_fixed_size 0
		.amdhsa_kernarg_size 72
		.amdhsa_user_sgpr_count 2
		.amdhsa_user_sgpr_dispatch_ptr 0
		.amdhsa_user_sgpr_queue_ptr 0
		.amdhsa_user_sgpr_kernarg_segment_ptr 1
		.amdhsa_user_sgpr_dispatch_id 0
		.amdhsa_user_sgpr_kernarg_preload_length 0
		.amdhsa_user_sgpr_kernarg_preload_offset 0
		.amdhsa_user_sgpr_private_segment_size 0
		.amdhsa_uses_dynamic_stack 0
		.amdhsa_enable_private_segment 0
		.amdhsa_system_sgpr_workgroup_id_x 1
		.amdhsa_system_sgpr_workgroup_id_y 0
		.amdhsa_system_sgpr_workgroup_id_z 0
		.amdhsa_system_sgpr_workgroup_info 0
		.amdhsa_system_vgpr_workitem_id 0
		.amdhsa_next_free_vgpr 46
		.amdhsa_next_free_sgpr 74
		.amdhsa_accum_offset 48
		.amdhsa_reserve_vcc 1
		.amdhsa_float_round_mode_32 0
		.amdhsa_float_round_mode_16_64 0
		.amdhsa_float_denorm_mode_32 3
		.amdhsa_float_denorm_mode_16_64 3
		.amdhsa_dx10_clamp 1
		.amdhsa_ieee_mode 1
		.amdhsa_fp16_overflow 0
		.amdhsa_tg_split 0
		.amdhsa_exception_fp_ieee_invalid_op 0
		.amdhsa_exception_fp_denorm_src 0
		.amdhsa_exception_fp_ieee_div_zero 0
		.amdhsa_exception_fp_ieee_overflow 0
		.amdhsa_exception_fp_ieee_underflow 0
		.amdhsa_exception_fp_ieee_inexact 0
		.amdhsa_exception_int_div_zero 0
	.end_amdhsa_kernel
	.section	.text._ZL19rocblas_tpsv_kernelILb1ELi512EPKPK19rocblas_complex_numIdEPKPS1_Ev18rocblas_operation_bbiT1_llT2_lll,"axG",@progbits,_ZL19rocblas_tpsv_kernelILb1ELi512EPKPK19rocblas_complex_numIdEPKPS1_Ev18rocblas_operation_bbiT1_llT2_lll,comdat
.Lfunc_end14:
	.size	_ZL19rocblas_tpsv_kernelILb1ELi512EPKPK19rocblas_complex_numIdEPKPS1_Ev18rocblas_operation_bbiT1_llT2_lll, .Lfunc_end14-_ZL19rocblas_tpsv_kernelILb1ELi512EPKPK19rocblas_complex_numIdEPKPS1_Ev18rocblas_operation_bbiT1_llT2_lll
                                        ; -- End function
	.set _ZL19rocblas_tpsv_kernelILb1ELi512EPKPK19rocblas_complex_numIdEPKPS1_Ev18rocblas_operation_bbiT1_llT2_lll.num_vgpr, 46
	.set _ZL19rocblas_tpsv_kernelILb1ELi512EPKPK19rocblas_complex_numIdEPKPS1_Ev18rocblas_operation_bbiT1_llT2_lll.num_agpr, 0
	.set _ZL19rocblas_tpsv_kernelILb1ELi512EPKPK19rocblas_complex_numIdEPKPS1_Ev18rocblas_operation_bbiT1_llT2_lll.numbered_sgpr, 74
	.set _ZL19rocblas_tpsv_kernelILb1ELi512EPKPK19rocblas_complex_numIdEPKPS1_Ev18rocblas_operation_bbiT1_llT2_lll.num_named_barrier, 0
	.set _ZL19rocblas_tpsv_kernelILb1ELi512EPKPK19rocblas_complex_numIdEPKPS1_Ev18rocblas_operation_bbiT1_llT2_lll.private_seg_size, 0
	.set _ZL19rocblas_tpsv_kernelILb1ELi512EPKPK19rocblas_complex_numIdEPKPS1_Ev18rocblas_operation_bbiT1_llT2_lll.uses_vcc, 1
	.set _ZL19rocblas_tpsv_kernelILb1ELi512EPKPK19rocblas_complex_numIdEPKPS1_Ev18rocblas_operation_bbiT1_llT2_lll.uses_flat_scratch, 0
	.set _ZL19rocblas_tpsv_kernelILb1ELi512EPKPK19rocblas_complex_numIdEPKPS1_Ev18rocblas_operation_bbiT1_llT2_lll.has_dyn_sized_stack, 0
	.set _ZL19rocblas_tpsv_kernelILb1ELi512EPKPK19rocblas_complex_numIdEPKPS1_Ev18rocblas_operation_bbiT1_llT2_lll.has_recursion, 0
	.set _ZL19rocblas_tpsv_kernelILb1ELi512EPKPK19rocblas_complex_numIdEPKPS1_Ev18rocblas_operation_bbiT1_llT2_lll.has_indirect_call, 0
	.section	.AMDGPU.csdata,"",@progbits
; Kernel info:
; codeLenInByte = 7712
; TotalNumSgprs: 80
; NumVgprs: 46
; NumAgprs: 0
; TotalNumVgprs: 46
; ScratchSize: 0
; MemoryBound: 0
; FloatMode: 240
; IeeeMode: 1
; LDSByteSize: 32768 bytes/workgroup (compile time only)
; SGPRBlocks: 9
; VGPRBlocks: 5
; NumSGPRsForWavesPerEU: 80
; NumVGPRsForWavesPerEU: 46
; AccumOffset: 48
; Occupancy: 8
; WaveLimiterHint : 1
; COMPUTE_PGM_RSRC2:SCRATCH_EN: 0
; COMPUTE_PGM_RSRC2:USER_SGPR: 2
; COMPUTE_PGM_RSRC2:TRAP_HANDLER: 0
; COMPUTE_PGM_RSRC2:TGID_X_EN: 1
; COMPUTE_PGM_RSRC2:TGID_Y_EN: 0
; COMPUTE_PGM_RSRC2:TGID_Z_EN: 0
; COMPUTE_PGM_RSRC2:TIDIG_COMP_CNT: 0
; COMPUTE_PGM_RSRC3_GFX90A:ACCUM_OFFSET: 11
; COMPUTE_PGM_RSRC3_GFX90A:TG_SPLIT: 0
	.section	.text._ZL19rocblas_tpsv_kernelILb0ELi512EPKPK19rocblas_complex_numIdEPKPS1_Ev18rocblas_operation_bbiT1_llT2_lll,"axG",@progbits,_ZL19rocblas_tpsv_kernelILb0ELi512EPKPK19rocblas_complex_numIdEPKPS1_Ev18rocblas_operation_bbiT1_llT2_lll,comdat
	.globl	_ZL19rocblas_tpsv_kernelILb0ELi512EPKPK19rocblas_complex_numIdEPKPS1_Ev18rocblas_operation_bbiT1_llT2_lll ; -- Begin function _ZL19rocblas_tpsv_kernelILb0ELi512EPKPK19rocblas_complex_numIdEPKPS1_Ev18rocblas_operation_bbiT1_llT2_lll
	.p2align	8
	.type	_ZL19rocblas_tpsv_kernelILb0ELi512EPKPK19rocblas_complex_numIdEPKPS1_Ev18rocblas_operation_bbiT1_llT2_lll,@function
_ZL19rocblas_tpsv_kernelILb0ELi512EPKPK19rocblas_complex_numIdEPKPS1_Ev18rocblas_operation_bbiT1_llT2_lll: ; @_ZL19rocblas_tpsv_kernelILb0ELi512EPKPK19rocblas_complex_numIdEPKPS1_Ev18rocblas_operation_bbiT1_llT2_lll
; %bb.0:
	s_load_dwordx2 s[22:23], s[0:1], 0x0
	s_load_dwordx2 s[12:13], s[0:1], 0x4
	s_load_dwordx4 s[16:19], s[0:1], 0x10
	s_load_dwordx2 s[14:15], s[0:1], 0x28
	s_mov_b32 s3, 0
	s_waitcnt lgkmcnt(0)
	s_bitcmp1_b32 s23, 0
	s_cselect_b64 s[4:5], -1, 0
	s_xor_b64 s[20:21], s[4:5], -1
	s_bitcmp1_b32 s12, 8
	s_cselect_b64 s[8:9], -1, 0
	s_lshl_b64 s[2:3], s[2:3], 3
	s_add_u32 s10, s16, s2
	s_addc_u32 s11, s17, s3
	s_load_dwordx2 s[16:17], s[10:11], 0x0
	s_load_dwordx4 s[4:7], s[0:1], 0x30
	s_lshl_b64 s[18:19], s[18:19], 4
	s_waitcnt lgkmcnt(0)
	s_add_u32 s10, s16, s18
	s_addc_u32 s11, s17, s19
	s_add_u32 s0, s14, s2
	s_addc_u32 s1, s15, s3
	s_load_dwordx2 s[0:1], s[0:1], 0x0
	s_lshl_b64 s[2:3], s[4:5], 4
	s_waitcnt lgkmcnt(0)
	s_add_u32 s4, s0, s2
	s_addc_u32 s5, s1, s3
	s_cmp_gt_i32 s13, 0
	s_cselect_b64 s[14:15], -1, 0
	s_cmpk_lg_i32 s22, 0x6f
	s_mov_b64 s[0:1], -1
	s_cbranch_scc0 .LBB15_92
; %bb.1:
	s_and_b64 vcc, exec, s[20:21]
	s_cbranch_vccz .LBB15_44
; %bb.2:
	s_andn2_b64 vcc, exec, s[14:15]
	s_cbranch_vccnz .LBB15_43
; %bb.3:
	s_lshl_b32 s2, s13, 1
	s_ashr_i32 s1, s13, 31
	s_mov_b32 s0, s13
	s_add_i32 s38, s13, 0xfffffe00
	s_or_b32 s12, s2, 1
	s_lshl_b64 s[0:1], s[0:1], 4
	s_add_u32 s0, s18, s0
	s_addc_u32 s1, s19, s1
	s_add_u32 s0, s16, s0
	s_addc_u32 s1, s17, s1
	v_mov_b32_e32 v1, 0x2000
	s_add_u32 s22, s0, 0xffffe000
	v_add_u32_e32 v2, s13, v0
	v_lshl_or_b32 v1, v0, 4, v1
	v_sub_u32_e32 v30, 0, v0
	s_addc_u32 s23, s1, -1
	v_add_u32_e32 v31, 0xfffffc00, v2
	s_ashr_i32 s33, s2, 31
	v_mov_b32_e32 v19, 0
	s_movk_i32 s40, 0x400
	s_xor_b64 s[24:25], s[8:9], -1
	s_movk_i32 s41, 0x401
	s_movk_i32 s42, 0x402
	;; [unrolled: 1-line block ×3, first 2 shown]
	s_mov_b64 s[26:27], 0x2000
	s_mov_b64 s[28:29], 0x200
	s_branch .LBB15_5
.LBB15_4:                               ;   in Loop: Header=BB15_5 Depth=1
	s_or_b64 exec, exec, s[30:31]
	s_add_u32 s22, s22, 0xffffe000
	s_addc_u32 s23, s23, -1
	v_add_u32_e32 v31, 0xfffffe00, v31
	s_andn2_b64 vcc, exec, s[2:3]
	s_mov_b32 s38, s44
	s_waitcnt lgkmcnt(0)
	s_barrier
	s_cbranch_vccz .LBB15_43
.LBB15_5:                               ; =>This Loop Header: Depth=1
                                        ;     Child Loop BB15_9 Depth 2
                                        ;     Child Loop BB15_21 Depth 2
                                        ;       Child Loop BB15_24 Depth 3
	v_add_u32_e32 v32, s38, v0
	v_cmp_gt_i32_e64 s[2:3], 0, v32
	v_cmp_lt_i32_e64 s[0:1], -1, v32
	s_and_saveexec_b64 s[30:31], s[0:1]
	s_cbranch_execz .LBB15_7
; %bb.6:                                ;   in Loop: Header=BB15_5 Depth=1
	v_mad_u64_u32 v[2:3], s[34:35], s6, v32, 0
	v_mov_b32_e32 v4, v3
	v_mad_u64_u32 v[4:5], s[34:35], s7, v32, v[4:5]
	v_mov_b32_e32 v3, v4
	v_lshl_add_u64 v[2:3], v[2:3], 4, s[4:5]
	flat_load_dwordx4 v[2:5], v[2:3]
	s_waitcnt vmcnt(0) lgkmcnt(0)
	ds_write2_b64 v1, v[2:3], v[4:5] offset1:1
.LBB15_7:                               ;   in Loop: Header=BB15_5 Depth=1
	s_or_b64 exec, exec, s[30:31]
	v_sub_u32_e32 v2, s12, v32
	v_ashrrev_i32_e32 v5, 31, v2
	v_mad_u64_u32 v[2:3], s[30:31], v32, v2, 0
	v_mov_b32_e32 v4, v3
	v_mad_u64_u32 v[4:5], s[30:31], v32, v5, v[4:5]
	v_mov_b32_e32 v3, v4
	v_lshlrev_b64 v[2:3], 3, v[2:3]
	v_and_b32_e32 v2, -16, v2
	s_or_b64 s[30:31], s[8:9], s[2:3]
	s_not_b32 s39, s38
	v_lshl_add_u64 v[14:15], s[10:11], 0, v[2:3]
	s_movk_i32 s44, 0x1ff
	s_movk_i32 s45, 0x3ff0
	s_xor_b64 s[30:31], s[30:31], -1
	s_waitcnt lgkmcnt(0)
	s_barrier
	s_branch .LBB15_9
.LBB15_8:                               ;   in Loop: Header=BB15_9 Depth=2
	s_or_b64 exec, exec, s[34:35]
	s_add_i32 s44, s44, -1
	s_add_i32 s45, s45, -16
	s_cmp_eq_u32 s44, -1
	s_cbranch_scc1 .LBB15_17
.LBB15_9:                               ;   Parent Loop BB15_5 Depth=1
                                        ; =>  This Inner Loop Header: Depth=2
	v_add_u32_e32 v18, s44, v30
	v_cmp_eq_u32_e32 vcc, 0, v18
	s_and_b64 s[36:37], vcc, s[30:31]
	s_and_saveexec_b64 s[34:35], s[36:37]
	s_cbranch_execz .LBB15_15
; %bb.10:                               ;   in Loop: Header=BB15_9 Depth=2
	flat_load_dwordx4 v[2:5], v[14:15]
	ds_read_b128 v[6:9], v1
                                        ; implicit-def: $vgpr10_vgpr11
	s_waitcnt vmcnt(0) lgkmcnt(0)
	v_cmp_ngt_f64_e64 s[36:37], |v[2:3]|, |v[4:5]|
	s_and_saveexec_b64 s[46:47], s[36:37]
	s_xor_b64 s[36:37], exec, s[46:47]
	s_cbranch_execz .LBB15_12
; %bb.11:                               ;   in Loop: Header=BB15_9 Depth=2
	v_div_scale_f64 v[10:11], s[46:47], v[4:5], v[4:5], v[2:3]
	v_rcp_f64_e32 v[12:13], v[10:11]
	v_div_scale_f64 v[16:17], vcc, v[2:3], v[4:5], v[2:3]
	v_fma_f64 v[20:21], -v[10:11], v[12:13], 1.0
	v_fmac_f64_e32 v[12:13], v[12:13], v[20:21]
	v_fma_f64 v[20:21], -v[10:11], v[12:13], 1.0
	v_fmac_f64_e32 v[12:13], v[12:13], v[20:21]
	v_mul_f64 v[20:21], v[16:17], v[12:13]
	v_fma_f64 v[10:11], -v[10:11], v[20:21], v[16:17]
	v_div_fmas_f64 v[10:11], v[10:11], v[12:13], v[20:21]
	v_div_fixup_f64 v[12:13], v[10:11], v[4:5], v[2:3]
	v_fmac_f64_e32 v[4:5], v[2:3], v[12:13]
	v_div_scale_f64 v[2:3], s[46:47], v[4:5], v[4:5], 1.0
	v_rcp_f64_e32 v[10:11], v[2:3]
	s_nop 0
	v_fma_f64 v[16:17], -v[2:3], v[10:11], 1.0
	v_fmac_f64_e32 v[10:11], v[10:11], v[16:17]
	v_fma_f64 v[16:17], -v[2:3], v[10:11], 1.0
	v_fmac_f64_e32 v[10:11], v[10:11], v[16:17]
	v_div_scale_f64 v[16:17], vcc, 1.0, v[4:5], 1.0
	v_mul_f64 v[20:21], v[16:17], v[10:11]
	v_fma_f64 v[2:3], -v[2:3], v[20:21], v[16:17]
	s_nop 1
	v_div_fmas_f64 v[2:3], v[2:3], v[10:11], v[20:21]
	v_div_fixup_f64 v[2:3], v[2:3], v[4:5], 1.0
	v_fma_f64 v[4:5], v[12:13], v[6:7], v[8:9]
	v_mul_f64 v[10:11], v[4:5], v[2:3]
	v_fma_f64 v[4:5], v[12:13], v[8:9], -v[6:7]
	v_mul_f64 v[12:13], v[2:3], v[4:5]
                                        ; implicit-def: $vgpr2_vgpr3
                                        ; implicit-def: $vgpr8_vgpr9
.LBB15_12:                              ;   in Loop: Header=BB15_9 Depth=2
	s_andn2_saveexec_b64 s[36:37], s[36:37]
	s_cbranch_execz .LBB15_14
; %bb.13:                               ;   in Loop: Header=BB15_9 Depth=2
	v_div_scale_f64 v[10:11], s[46:47], v[2:3], v[2:3], v[4:5]
	v_rcp_f64_e32 v[12:13], v[10:11]
	v_div_scale_f64 v[16:17], vcc, v[4:5], v[2:3], v[4:5]
	v_fma_f64 v[20:21], -v[10:11], v[12:13], 1.0
	v_fmac_f64_e32 v[12:13], v[12:13], v[20:21]
	v_fma_f64 v[20:21], -v[10:11], v[12:13], 1.0
	v_fmac_f64_e32 v[12:13], v[12:13], v[20:21]
	v_mul_f64 v[20:21], v[16:17], v[12:13]
	v_fma_f64 v[10:11], -v[10:11], v[20:21], v[16:17]
	v_div_fmas_f64 v[10:11], v[10:11], v[12:13], v[20:21]
	v_div_fixup_f64 v[12:13], v[10:11], v[2:3], v[4:5]
	v_fmac_f64_e32 v[2:3], v[4:5], v[12:13]
	v_div_scale_f64 v[4:5], s[46:47], v[2:3], v[2:3], 1.0
	v_rcp_f64_e32 v[10:11], v[4:5]
	s_nop 0
	v_fma_f64 v[16:17], -v[4:5], v[10:11], 1.0
	v_fmac_f64_e32 v[10:11], v[10:11], v[16:17]
	v_fma_f64 v[16:17], -v[4:5], v[10:11], 1.0
	v_fmac_f64_e32 v[10:11], v[10:11], v[16:17]
	v_div_scale_f64 v[16:17], vcc, 1.0, v[2:3], 1.0
	v_mul_f64 v[20:21], v[16:17], v[10:11]
	v_fma_f64 v[4:5], -v[4:5], v[20:21], v[16:17]
	s_nop 1
	v_div_fmas_f64 v[4:5], v[4:5], v[10:11], v[20:21]
	v_div_fixup_f64 v[2:3], v[4:5], v[2:3], 1.0
	v_fma_f64 v[4:5], v[12:13], v[8:9], v[6:7]
	v_mul_f64 v[10:11], v[2:3], v[4:5]
	v_fma_f64 v[4:5], -v[12:13], v[6:7], v[8:9]
	v_mul_f64 v[12:13], v[4:5], v[2:3]
.LBB15_14:                              ;   in Loop: Header=BB15_9 Depth=2
	s_or_b64 exec, exec, s[36:37]
	ds_write_b128 v1, v[10:13]
.LBB15_15:                              ;   in Loop: Header=BB15_9 Depth=2
	s_or_b64 exec, exec, s[34:35]
	s_cmp_le_i32 s44, s39
	v_cmp_le_u32_e32 vcc, s44, v0
	s_cselect_b64 s[34:35], -1, 0
	s_or_b64 s[34:35], vcc, s[34:35]
	s_nor_b64 s[36:37], s[2:3], s[34:35]
	s_waitcnt lgkmcnt(0)
	s_barrier
	s_and_saveexec_b64 s[34:35], s[36:37]
	s_cbranch_execz .LBB15_8
; %bb.16:                               ;   in Loop: Header=BB15_9 Depth=2
	v_lshl_add_u64 v[2:3], v[18:19], 4, v[14:15]
	flat_load_dwordx4 v[2:5], v[2:3]
	v_mov_b32_e32 v6, s45
	ds_read_b128 v[6:9], v6
	ds_read_b128 v[10:13], v1
	s_waitcnt vmcnt(0) lgkmcnt(0)
	v_mul_f64 v[16:17], v[4:5], v[8:9]
	v_mul_f64 v[8:9], v[2:3], v[8:9]
	v_fma_f64 v[2:3], v[2:3], v[6:7], -v[16:17]
	v_fmac_f64_e32 v[8:9], v[4:5], v[6:7]
	v_add_f64 v[2:3], v[10:11], -v[2:3]
	v_add_f64 v[4:5], v[12:13], -v[8:9]
	ds_write_b128 v1, v[2:5]
	s_branch .LBB15_8
.LBB15_17:                              ;   in Loop: Header=BB15_5 Depth=1
	s_add_i32 s44, s38, 0xfffffe00
	s_cmp_lt_i32 s38, 1
	s_cselect_b64 s[2:3], -1, 0
	s_and_b64 vcc, exec, s[2:3]
	s_waitcnt lgkmcnt(0)
	s_barrier
	s_cbranch_vccnz .LBB15_41
; %bb.18:                               ;   in Loop: Header=BB15_5 Depth=1
	v_ashrrev_i32_e32 v2, 31, v31
	v_mad_i64_i32 v[20:21], s[30:31], v31, -16, s[22:23]
	v_mov_b32_e32 v3, s33
	v_sub_co_u32_e32 v22, vcc, s12, v31
	s_mov_b64 s[30:31], 0
	s_nop 0
	v_subb_co_u32_e32 v23, vcc, v3, v2, vcc
	v_mov_b32_e32 v18, v31
	v_mov_b32_e32 v33, v0
	s_mov_b32 s45, s44
                                        ; implicit-def: $sgpr34_sgpr35
	s_branch .LBB15_21
.LBB15_19:                              ;   in Loop: Header=BB15_21 Depth=2
	v_mad_u64_u32 v[2:3], s[38:39], s6, v34, 0
	v_mov_b32_e32 v4, v3
	v_mad_u64_u32 v[4:5], s[38:39], s7, v34, v[4:5]
	v_mov_b32_e32 v3, v4
	v_lshl_add_u64 v[6:7], v[2:3], 4, s[4:5]
	flat_load_dwordx4 v[2:5], v[6:7]
	s_add_i32 s46, s45, 0xfffffe00
	s_cmp_lt_i32 s45, 1
	s_cselect_b64 s[38:39], -1, 0
	s_andn2_b64 s[34:35], s[34:35], exec
	s_and_b64 s[38:39], s[38:39], exec
	v_add_u32_e32 v33, 0xfffffe00, v33
	v_lshl_add_u64 v[20:21], v[20:21], 0, s[26:27]
	v_lshl_add_u64 v[22:23], v[22:23], 0, s[28:29]
	v_add_u32_e32 v18, 0xfffffe00, v18
	s_or_b64 s[34:35], s[34:35], s[38:39]
	s_mov_b32 s45, s46
	s_waitcnt vmcnt(0) lgkmcnt(0)
	v_add_f64 v[2:3], v[2:3], -v[26:27]
	v_add_f64 v[4:5], v[4:5], -v[24:25]
	flat_store_dwordx4 v[6:7], v[2:5]
.LBB15_20:                              ;   in Loop: Header=BB15_21 Depth=2
	s_or_b64 exec, exec, s[36:37]
	s_and_b64 s[36:37], exec, s[34:35]
	s_or_b64 s[30:31], s[36:37], s[30:31]
	s_andn2_b64 exec, exec, s[30:31]
	s_cbranch_execz .LBB15_40
.LBB15_21:                              ;   Parent Loop BB15_5 Depth=1
                                        ; =>  This Loop Header: Depth=2
                                        ;       Child Loop BB15_24 Depth 3
	v_add_u32_e32 v34, s45, v0
	v_cmp_lt_i32_e32 vcc, -1, v34
	s_or_b64 s[34:35], s[34:35], exec
	s_and_saveexec_b64 s[36:37], vcc
	s_cbranch_execz .LBB15_20
; %bb.22:                               ;   in Loop: Header=BB15_21 Depth=2
	v_mad_u64_u32 v[2:3], s[38:39], v22, v18, 0
	v_mov_b32_e32 v4, v3
	v_mad_u64_u32 v[4:5], s[38:39], v23, v18, v[4:5]
	v_mov_b32_e32 v3, v4
	v_lshlrev_b64 v[2:3], 3, v[2:3]
	v_and_b32_e32 v2, -16, v2
	v_lshl_add_u64 v[28:29], v[20:21], 0, v[2:3]
	v_mov_b64_e32 v[24:25], 0
	s_movk_i32 s46, 0x2000
	s_movk_i32 s47, 0x200
	v_mov_b64_e32 v[26:27], 0
	s_branch .LBB15_24
.LBB15_23:                              ;   in Loop: Header=BB15_24 Depth=3
	s_or_b64 exec, exec, s[38:39]
	s_waitcnt lgkmcnt(0)
	v_add_f64 v[4:5], v[24:25], v[4:5]
	v_add_f64 v[2:3], v[26:27], v[2:3]
	;; [unrolled: 1-line block ×6, first 2 shown]
	s_add_i32 s46, s46, 64
	s_add_i32 s47, s47, -4
	v_add_f64 v[24:25], v[4:5], v[16:17]
	v_add_f64 v[26:27], v[2:3], v[14:15]
	s_cmp_eq_u32 s47, 0
	v_lshl_add_u64 v[28:29], v[28:29], 0, 64
	s_cbranch_scc1 .LBB15_19
.LBB15_24:                              ;   Parent Loop BB15_5 Depth=1
                                        ;     Parent Loop BB15_21 Depth=2
                                        ; =>    This Inner Loop Header: Depth=3
	v_add_u32_e32 v14, s47, v33
	v_cmp_ne_u32_e32 vcc, s40, v14
	s_or_b64 s[38:39], s[24:25], vcc
                                        ; implicit-def: $vgpr4_vgpr5
	s_and_saveexec_b64 s[48:49], s[38:39]
	s_xor_b64 s[38:39], exec, s[48:49]
	s_cbranch_execz .LBB15_26
; %bb.25:                               ;   in Loop: Header=BB15_24 Depth=3
	flat_load_dwordx4 v[6:9], v[28:29]
	v_mov_b32_e32 v2, s46
	ds_read_b128 v[10:13], v2
	s_waitcnt vmcnt(0) lgkmcnt(0)
	v_mul_f64 v[2:3], v[8:9], v[12:13]
	v_mul_f64 v[4:5], v[6:7], v[12:13]
	v_fma_f64 v[2:3], v[6:7], v[10:11], -v[2:3]
	v_fmac_f64_e32 v[4:5], v[8:9], v[10:11]
.LBB15_26:                              ;   in Loop: Header=BB15_24 Depth=3
	s_andn2_saveexec_b64 s[38:39], s[38:39]
; %bb.27:                               ;   in Loop: Header=BB15_24 Depth=3
	v_mov_b32_e32 v2, s46
	ds_read_b128 v[2:5], v2
; %bb.28:                               ;   in Loop: Header=BB15_24 Depth=3
	s_or_b64 exec, exec, s[38:39]
	v_cmp_ne_u32_e32 vcc, s41, v14
	s_or_b64 s[38:39], s[24:25], vcc
                                        ; implicit-def: $vgpr8_vgpr9
	s_and_saveexec_b64 s[48:49], s[38:39]
	s_xor_b64 s[38:39], exec, s[48:49]
	s_cbranch_execz .LBB15_30
; %bb.29:                               ;   in Loop: Header=BB15_24 Depth=3
	flat_load_dwordx4 v[10:13], v[28:29] offset:16
	v_mov_b32_e32 v6, s46
	ds_read_b128 v[36:39], v6 offset:16
	s_waitcnt vmcnt(0) lgkmcnt(0)
	v_mul_f64 v[6:7], v[12:13], v[38:39]
	v_mul_f64 v[8:9], v[10:11], v[38:39]
	v_fma_f64 v[6:7], v[10:11], v[36:37], -v[6:7]
	v_fmac_f64_e32 v[8:9], v[12:13], v[36:37]
.LBB15_30:                              ;   in Loop: Header=BB15_24 Depth=3
	s_andn2_saveexec_b64 s[38:39], s[38:39]
; %bb.31:                               ;   in Loop: Header=BB15_24 Depth=3
	v_mov_b32_e32 v6, s46
	ds_read_b128 v[6:9], v6 offset:16
; %bb.32:                               ;   in Loop: Header=BB15_24 Depth=3
	s_or_b64 exec, exec, s[38:39]
	v_cmp_ne_u32_e32 vcc, s42, v14
	s_or_b64 s[38:39], s[24:25], vcc
                                        ; implicit-def: $vgpr12_vgpr13
	s_and_saveexec_b64 s[48:49], s[38:39]
	s_xor_b64 s[38:39], exec, s[48:49]
	s_cbranch_execz .LBB15_34
; %bb.33:                               ;   in Loop: Header=BB15_24 Depth=3
	flat_load_dwordx4 v[36:39], v[28:29] offset:32
	v_mov_b32_e32 v10, s46
	ds_read_b128 v[40:43], v10 offset:32
	s_waitcnt vmcnt(0) lgkmcnt(0)
	v_mul_f64 v[10:11], v[38:39], v[42:43]
	v_mul_f64 v[12:13], v[36:37], v[42:43]
	v_fma_f64 v[10:11], v[36:37], v[40:41], -v[10:11]
	v_fmac_f64_e32 v[12:13], v[38:39], v[40:41]
.LBB15_34:                              ;   in Loop: Header=BB15_24 Depth=3
	s_andn2_saveexec_b64 s[38:39], s[38:39]
; %bb.35:                               ;   in Loop: Header=BB15_24 Depth=3
	v_mov_b32_e32 v10, s46
	ds_read_b128 v[10:13], v10 offset:32
; %bb.36:                               ;   in Loop: Header=BB15_24 Depth=3
	s_or_b64 exec, exec, s[38:39]
	v_cmp_ne_u32_e32 vcc, s43, v14
	s_or_b64 s[38:39], s[24:25], vcc
                                        ; implicit-def: $vgpr16_vgpr17
	s_and_saveexec_b64 s[48:49], s[38:39]
	s_xor_b64 s[38:39], exec, s[48:49]
	s_cbranch_execz .LBB15_38
; %bb.37:                               ;   in Loop: Header=BB15_24 Depth=3
	flat_load_dwordx4 v[36:39], v[28:29] offset:48
	v_mov_b32_e32 v14, s46
	ds_read_b128 v[40:43], v14 offset:48
	s_waitcnt vmcnt(0) lgkmcnt(0)
	v_mul_f64 v[14:15], v[38:39], v[42:43]
	v_mul_f64 v[16:17], v[36:37], v[42:43]
	v_fma_f64 v[14:15], v[36:37], v[40:41], -v[14:15]
	v_fmac_f64_e32 v[16:17], v[38:39], v[40:41]
.LBB15_38:                              ;   in Loop: Header=BB15_24 Depth=3
	s_andn2_saveexec_b64 s[38:39], s[38:39]
	s_cbranch_execz .LBB15_23
; %bb.39:                               ;   in Loop: Header=BB15_24 Depth=3
	v_mov_b32_e32 v14, s46
	ds_read_b128 v[14:17], v14 offset:48
	s_branch .LBB15_23
.LBB15_40:                              ;   in Loop: Header=BB15_5 Depth=1
	s_or_b64 exec, exec, s[30:31]
.LBB15_41:                              ;   in Loop: Header=BB15_5 Depth=1
	s_and_saveexec_b64 s[30:31], s[0:1]
	s_cbranch_execz .LBB15_4
; %bb.42:                               ;   in Loop: Header=BB15_5 Depth=1
	v_mad_u64_u32 v[6:7], s[0:1], s6, v32, 0
	ds_read2_b64 v[2:5], v1 offset1:1
	v_mov_b32_e32 v8, v7
	v_mad_u64_u32 v[8:9], s[0:1], s7, v32, v[8:9]
	v_mov_b32_e32 v7, v8
	v_lshl_add_u64 v[6:7], v[6:7], 4, s[4:5]
	s_waitcnt lgkmcnt(0)
	flat_store_dwordx4 v[6:7], v[2:5]
	s_branch .LBB15_4
.LBB15_43:
	s_mov_b64 s[0:1], 0
.LBB15_44:
	s_andn2_b64 vcc, exec, s[0:1]
	s_cbranch_vccnz .LBB15_91
; %bb.45:
	s_andn2_b64 vcc, exec, s[14:15]
	s_cbranch_vccnz .LBB15_91
; %bb.46:
	v_mov_b32_e32 v15, 0
	v_mov_b32_e32 v1, v15
	v_mad_u64_u32 v[16:17], s[0:1], v0, v0, v[0:1]
	v_lshlrev_b32_e32 v14, 10, v0
	s_mov_b64 s[0:1], 0x40200
	v_lshl_add_u64 v[18:19], v[14:15], 0, s[0:1]
	v_or_b32_e32 v14, 0x200, v0
	v_lshlrev_b32_e32 v26, 4, v0
	s_mov_b32 s12, 0
	v_add_u32_e32 v1, 0x201, v0
	s_xor_b64 s[22:23], s[8:9], -1
	s_mov_b64 s[24:25], 0x200
	s_mov_b64 s[26:27], 0x80000
	v_mov_b64_e32 v[20:21], v[14:15]
	s_mov_b64 s[28:29], s[10:11]
	s_branch .LBB15_48
.LBB15_47:                              ;   in Loop: Header=BB15_48 Depth=1
	s_or_b64 exec, exec, s[30:31]
	s_add_u32 s28, s28, 0x2000
	v_lshl_add_u64 v[2:3], v[18:19], 0, s[26:27]
	s_addc_u32 s29, s29, 0
	v_lshl_add_u64 v[16:17], v[16:17], 0, v[18:19]
	v_lshl_add_u64 v[20:21], v[20:21], 0, s[24:25]
	v_add_u32_e32 v1, 0x200, v1
	s_and_b64 vcc, exec, s[2:3]
	v_mov_b64_e32 v[18:19], v[2:3]
	s_mov_b32 s12, s33
	s_waitcnt lgkmcnt(0)
	s_barrier
	s_cbranch_vccnz .LBB15_91
.LBB15_48:                              ; =>This Loop Header: Depth=1
                                        ;     Child Loop BB15_52 Depth 2
                                        ;     Child Loop BB15_65 Depth 2
                                        ;       Child Loop BB15_68 Depth 3
	v_add_u32_e32 v27, s12, v0
	v_cmp_le_i32_e32 vcc, s13, v27
	v_cmp_gt_i32_e64 s[0:1], s13, v27
	s_and_saveexec_b64 s[2:3], s[0:1]
	s_cbranch_execz .LBB15_50
; %bb.49:                               ;   in Loop: Header=BB15_48 Depth=1
	v_mad_u64_u32 v[2:3], s[30:31], s6, v27, 0
	v_mov_b32_e32 v4, v3
	v_mad_u64_u32 v[4:5], s[30:31], s7, v27, v[4:5]
	v_mov_b32_e32 v3, v4
	v_lshl_add_u64 v[2:3], v[2:3], 4, s[4:5]
	flat_load_dwordx4 v[2:5], v[2:3]
	s_waitcnt vmcnt(0) lgkmcnt(0)
	ds_write2_b64 v26, v[2:3], v[4:5] offset1:1
.LBB15_50:                              ;   in Loop: Header=BB15_48 Depth=1
	s_or_b64 exec, exec, s[2:3]
	v_lshlrev_b64 v[2:3], 3, v[16:17]
	v_and_b32_e32 v2, -16, v2
	v_or_b32_e32 v14, s12, v0
	v_lshl_add_u64 v[22:23], s[28:29], 0, v[2:3]
	v_add_u32_e32 v2, 1, v14
	v_mad_u64_u32 v[2:3], s[30:31], v2, v14, 0
	v_lshlrev_b64 v[2:3], 3, v[2:3]
	v_lshl_add_u64 v[4:5], v[14:15], 4, s[10:11]
	v_and_b32_e32 v2, -16, v2
	v_cmp_le_i32_e64 s[2:3], s13, v14
	v_lshl_add_u64 v[24:25], v[4:5], 0, v[2:3]
	s_mov_b32 s33, 0
	s_xor_b64 s[30:31], vcc, -1
	s_mov_b32 s38, 0
	s_waitcnt lgkmcnt(0)
	s_barrier
	s_branch .LBB15_52
.LBB15_51:                              ;   in Loop: Header=BB15_52 Depth=2
	s_or_b64 exec, exec, s[34:35]
	s_add_i32 s38, s38, 1
	s_add_i32 s33, s33, 16
	s_cmpk_eq_i32 s38, 0x200
	v_lshl_add_u64 v[22:23], v[22:23], 0, 16
	s_cbranch_scc1 .LBB15_61
.LBB15_52:                              ;   Parent Loop BB15_48 Depth=1
                                        ; =>  This Inner Loop Header: Depth=2
	v_cmp_ne_u32_e32 vcc, s38, v0
	s_or_b64 s[34:35], s[8:9], vcc
	s_nor_b64 s[36:37], s[34:35], s[2:3]
	s_and_saveexec_b64 s[34:35], s[36:37]
	s_cbranch_execz .LBB15_58
; %bb.53:                               ;   in Loop: Header=BB15_52 Depth=2
	flat_load_dwordx4 v[2:5], v[24:25]
	ds_read_b128 v[6:9], v26
                                        ; implicit-def: $vgpr10_vgpr11
	s_waitcnt vmcnt(0) lgkmcnt(0)
	v_cmp_ngt_f64_e64 s[36:37], |v[2:3]|, |v[4:5]|
	s_and_saveexec_b64 s[40:41], s[36:37]
	s_xor_b64 s[36:37], exec, s[40:41]
	s_cbranch_execz .LBB15_55
; %bb.54:                               ;   in Loop: Header=BB15_52 Depth=2
	v_div_scale_f64 v[10:11], s[40:41], v[4:5], v[4:5], v[2:3]
	v_rcp_f64_e32 v[12:13], v[10:11]
	v_div_scale_f64 v[28:29], vcc, v[2:3], v[4:5], v[2:3]
	v_fma_f64 v[30:31], -v[10:11], v[12:13], 1.0
	v_fmac_f64_e32 v[12:13], v[12:13], v[30:31]
	v_fma_f64 v[30:31], -v[10:11], v[12:13], 1.0
	v_fmac_f64_e32 v[12:13], v[12:13], v[30:31]
	v_mul_f64 v[30:31], v[28:29], v[12:13]
	v_fma_f64 v[10:11], -v[10:11], v[30:31], v[28:29]
	v_div_fmas_f64 v[10:11], v[10:11], v[12:13], v[30:31]
	v_div_fixup_f64 v[12:13], v[10:11], v[4:5], v[2:3]
	v_fmac_f64_e32 v[4:5], v[2:3], v[12:13]
	v_div_scale_f64 v[2:3], s[40:41], v[4:5], v[4:5], 1.0
	v_rcp_f64_e32 v[10:11], v[2:3]
	s_nop 0
	v_fma_f64 v[28:29], -v[2:3], v[10:11], 1.0
	v_fmac_f64_e32 v[10:11], v[10:11], v[28:29]
	v_fma_f64 v[28:29], -v[2:3], v[10:11], 1.0
	v_fmac_f64_e32 v[10:11], v[10:11], v[28:29]
	v_div_scale_f64 v[28:29], vcc, 1.0, v[4:5], 1.0
	v_mul_f64 v[30:31], v[28:29], v[10:11]
	v_fma_f64 v[2:3], -v[2:3], v[30:31], v[28:29]
	s_nop 1
	v_div_fmas_f64 v[2:3], v[2:3], v[10:11], v[30:31]
	v_div_fixup_f64 v[2:3], v[2:3], v[4:5], 1.0
	v_fma_f64 v[4:5], v[12:13], v[6:7], v[8:9]
	v_mul_f64 v[10:11], v[4:5], v[2:3]
	v_fma_f64 v[4:5], v[12:13], v[8:9], -v[6:7]
	v_mul_f64 v[12:13], v[2:3], v[4:5]
                                        ; implicit-def: $vgpr2_vgpr3
                                        ; implicit-def: $vgpr8_vgpr9
.LBB15_55:                              ;   in Loop: Header=BB15_52 Depth=2
	s_andn2_saveexec_b64 s[36:37], s[36:37]
	s_cbranch_execz .LBB15_57
; %bb.56:                               ;   in Loop: Header=BB15_52 Depth=2
	v_div_scale_f64 v[10:11], s[40:41], v[2:3], v[2:3], v[4:5]
	v_rcp_f64_e32 v[12:13], v[10:11]
	v_div_scale_f64 v[28:29], vcc, v[4:5], v[2:3], v[4:5]
	v_fma_f64 v[30:31], -v[10:11], v[12:13], 1.0
	v_fmac_f64_e32 v[12:13], v[12:13], v[30:31]
	v_fma_f64 v[30:31], -v[10:11], v[12:13], 1.0
	v_fmac_f64_e32 v[12:13], v[12:13], v[30:31]
	v_mul_f64 v[30:31], v[28:29], v[12:13]
	v_fma_f64 v[10:11], -v[10:11], v[30:31], v[28:29]
	v_div_fmas_f64 v[10:11], v[10:11], v[12:13], v[30:31]
	v_div_fixup_f64 v[12:13], v[10:11], v[2:3], v[4:5]
	v_fmac_f64_e32 v[2:3], v[4:5], v[12:13]
	v_div_scale_f64 v[4:5], s[40:41], v[2:3], v[2:3], 1.0
	v_rcp_f64_e32 v[10:11], v[4:5]
	s_nop 0
	v_fma_f64 v[28:29], -v[4:5], v[10:11], 1.0
	v_fmac_f64_e32 v[10:11], v[10:11], v[28:29]
	v_fma_f64 v[28:29], -v[4:5], v[10:11], 1.0
	v_fmac_f64_e32 v[10:11], v[10:11], v[28:29]
	v_div_scale_f64 v[28:29], vcc, 1.0, v[2:3], 1.0
	v_mul_f64 v[30:31], v[28:29], v[10:11]
	v_fma_f64 v[4:5], -v[4:5], v[30:31], v[28:29]
	s_nop 1
	v_div_fmas_f64 v[4:5], v[4:5], v[10:11], v[30:31]
	v_div_fixup_f64 v[2:3], v[4:5], v[2:3], 1.0
	v_fma_f64 v[4:5], v[12:13], v[8:9], v[6:7]
	v_mul_f64 v[10:11], v[2:3], v[4:5]
	v_fma_f64 v[4:5], -v[12:13], v[6:7], v[8:9]
	v_mul_f64 v[12:13], v[4:5], v[2:3]
.LBB15_57:                              ;   in Loop: Header=BB15_52 Depth=2
	s_or_b64 exec, exec, s[36:37]
	ds_write_b128 v26, v[10:13]
.LBB15_58:                              ;   in Loop: Header=BB15_52 Depth=2
	s_or_b64 exec, exec, s[34:35]
	v_cmp_lt_u32_e32 vcc, s38, v0
	s_waitcnt lgkmcnt(0)
	s_barrier
	s_and_saveexec_b64 s[34:35], vcc
	s_cbranch_execz .LBB15_51
; %bb.59:                               ;   in Loop: Header=BB15_52 Depth=2
	s_add_i32 s36, s12, s38
	s_cmp_lt_i32 s36, s13
	s_cselect_b64 s[36:37], -1, 0
	s_and_b64 s[36:37], s[30:31], s[36:37]
	s_and_b64 exec, exec, s[36:37]
	s_cbranch_execz .LBB15_51
; %bb.60:                               ;   in Loop: Header=BB15_52 Depth=2
	flat_load_dwordx4 v[2:5], v[22:23]
	v_mov_b32_e32 v6, s33
	ds_read_b128 v[6:9], v6
	ds_read_b128 v[10:13], v26
	s_waitcnt vmcnt(0) lgkmcnt(0)
	v_mul_f64 v[28:29], v[4:5], v[8:9]
	v_mul_f64 v[8:9], v[2:3], v[8:9]
	v_fma_f64 v[2:3], v[2:3], v[6:7], -v[28:29]
	v_fmac_f64_e32 v[8:9], v[4:5], v[6:7]
	v_add_f64 v[2:3], v[10:11], -v[2:3]
	v_add_f64 v[4:5], v[12:13], -v[8:9]
	ds_write_b128 v26, v[2:5]
	s_branch .LBB15_51
.LBB15_61:                              ;   in Loop: Header=BB15_48 Depth=1
	s_add_i32 s33, s12, 0x200
	s_cmp_ge_i32 s33, s13
	s_cselect_b64 s[2:3], -1, 0
	s_and_b64 vcc, exec, s[2:3]
	s_waitcnt lgkmcnt(0)
	s_barrier
	s_cbranch_vccnz .LBB15_89
; %bb.62:                               ;   in Loop: Header=BB15_48 Depth=1
	s_mov_b64 s[30:31], 0
	v_mov_b32_e32 v10, v1
	v_mov_b64_e32 v[2:3], v[20:21]
	v_mov_b32_e32 v11, v0
	s_mov_b32 s40, s33
                                        ; implicit-def: $sgpr34_sgpr35
	s_branch .LBB15_65
.LBB15_63:                              ;   in Loop: Header=BB15_65 Depth=2
	v_mad_u64_u32 v[8:9], s[38:39], s6, v12, 0
	v_mov_b32_e32 v14, v9
	v_mad_u64_u32 v[12:13], s[38:39], s7, v12, v[14:15]
	v_mov_b32_e32 v9, v12
	v_lshl_add_u64 v[12:13], v[8:9], 4, s[4:5]
	flat_load_dwordx4 v[22:25], v[12:13]
	s_addk_i32 s40, 0x200
	s_cmp_ge_i32 s40, s13
	s_cselect_b64 s[38:39], -1, 0
	s_andn2_b64 s[34:35], s[34:35], exec
	s_and_b64 s[38:39], s[38:39], exec
	v_lshl_add_u64 v[2:3], v[2:3], 0, s[24:25]
	v_add_u32_e32 v10, 0x200, v10
	s_or_b64 s[34:35], s[34:35], s[38:39]
	s_waitcnt vmcnt(0) lgkmcnt(0)
	v_add_f64 v[6:7], v[22:23], -v[6:7]
	v_add_f64 v[8:9], v[24:25], -v[4:5]
	flat_store_dwordx4 v[12:13], v[6:9]
.LBB15_64:                              ;   in Loop: Header=BB15_65 Depth=2
	s_or_b64 exec, exec, s[36:37]
	s_and_b64 s[36:37], exec, s[34:35]
	s_or_b64 s[30:31], s[36:37], s[30:31]
	s_andn2_b64 exec, exec, s[30:31]
	s_cbranch_execz .LBB15_88
.LBB15_65:                              ;   Parent Loop BB15_48 Depth=1
                                        ; =>  This Loop Header: Depth=2
                                        ;       Child Loop BB15_68 Depth 3
	v_add_u32_e32 v12, s40, v0
	v_cmp_gt_i32_e32 vcc, s13, v12
	s_or_b64 s[34:35], s[34:35], exec
	s_and_saveexec_b64 s[36:37], vcc
	s_cbranch_execz .LBB15_64
; %bb.66:                               ;   in Loop: Header=BB15_65 Depth=2
	v_mad_u64_u32 v[4:5], s[38:39], v2, v10, 0
	v_mov_b32_e32 v6, v5
	v_mad_u64_u32 v[6:7], s[38:39], v3, v10, v[6:7]
	v_mov_b32_e32 v5, v6
	v_lshlrev_b64 v[4:5], 3, v[4:5]
	v_and_b32_e32 v4, -16, v4
	v_lshl_add_u64 v[8:9], s[28:29], 0, v[4:5]
	v_add_u32_e32 v13, 0x1fd, v11
	v_add_u32_e32 v14, 0x1fe, v11
	v_add_u32_e32 v22, 0x1ff, v11
	v_add_u32_e32 v11, 0x200, v11
	v_mov_b64_e32 v[4:5], 0
	s_mov_b32 s41, 0
	s_mov_b32 s42, 0
	v_mov_b64_e32 v[6:7], 0
	s_branch .LBB15_68
.LBB15_67:                              ;   in Loop: Header=BB15_68 Depth=3
	s_or_b64 exec, exec, s[38:39]
	s_add_i32 s42, s42, 4
	s_add_i32 s41, s41, 64
	s_cmpk_eq_i32 s42, 0x200
	v_lshl_add_u64 v[8:9], v[8:9], 0, 64
	s_cbranch_scc1 .LBB15_63
.LBB15_68:                              ;   Parent Loop BB15_48 Depth=1
                                        ;     Parent Loop BB15_65 Depth=2
                                        ; =>    This Inner Loop Header: Depth=3
	v_cmp_ne_u32_e32 vcc, s42, v11
	s_add_i32 s43, s12, s42
	s_or_b64 s[38:39], s[22:23], vcc
	s_and_saveexec_b64 s[44:45], s[38:39]
	s_xor_b64 s[38:39], exec, s[44:45]
	s_cbranch_execz .LBB15_71
; %bb.69:                               ;   in Loop: Header=BB15_68 Depth=3
	s_cmp_ge_i32 s43, s13
	s_cbranch_scc1 .LBB15_71
; %bb.70:                               ;   in Loop: Header=BB15_68 Depth=3
	flat_load_dwordx4 v[28:31], v[8:9]
	v_mov_b32_e32 v23, s41
	ds_read_b128 v[32:35], v23
	s_waitcnt vmcnt(0) lgkmcnt(0)
	v_mul_f64 v[24:25], v[30:31], v[34:35]
	v_mul_f64 v[34:35], v[28:29], v[34:35]
	v_fma_f64 v[24:25], v[28:29], v[32:33], -v[24:25]
	v_fmac_f64_e32 v[34:35], v[30:31], v[32:33]
	v_add_f64 v[6:7], v[6:7], v[24:25]
	v_add_f64 v[4:5], v[4:5], v[34:35]
.LBB15_71:                              ;   in Loop: Header=BB15_68 Depth=3
	s_andn2_saveexec_b64 s[38:39], s[38:39]
	s_cbranch_execz .LBB15_73
; %bb.72:                               ;   in Loop: Header=BB15_68 Depth=3
	v_mov_b32_e32 v23, s41
	ds_read_b128 v[28:31], v23
	s_waitcnt lgkmcnt(0)
	v_add_f64 v[6:7], v[6:7], v[28:29]
	v_add_f64 v[4:5], v[4:5], v[30:31]
.LBB15_73:                              ;   in Loop: Header=BB15_68 Depth=3
	s_or_b64 exec, exec, s[38:39]
	v_cmp_ne_u32_e32 vcc, s42, v22
	s_or_b64 s[38:39], s[22:23], vcc
	s_and_saveexec_b64 s[44:45], s[38:39]
	s_xor_b64 s[38:39], exec, s[44:45]
	s_cbranch_execz .LBB15_76
; %bb.74:                               ;   in Loop: Header=BB15_68 Depth=3
	s_add_i32 s44, s43, 1
	s_cmp_ge_i32 s44, s13
	s_cbranch_scc1 .LBB15_76
; %bb.75:                               ;   in Loop: Header=BB15_68 Depth=3
	flat_load_dwordx4 v[28:31], v[8:9] offset:16
	v_mov_b32_e32 v23, s41
	ds_read_b128 v[32:35], v23 offset:16
	s_waitcnt vmcnt(0) lgkmcnt(0)
	v_mul_f64 v[24:25], v[30:31], v[34:35]
	v_mul_f64 v[34:35], v[28:29], v[34:35]
	v_fma_f64 v[24:25], v[28:29], v[32:33], -v[24:25]
	v_fmac_f64_e32 v[34:35], v[30:31], v[32:33]
	v_add_f64 v[6:7], v[6:7], v[24:25]
	v_add_f64 v[4:5], v[4:5], v[34:35]
.LBB15_76:                              ;   in Loop: Header=BB15_68 Depth=3
	s_andn2_saveexec_b64 s[38:39], s[38:39]
	s_cbranch_execz .LBB15_78
; %bb.77:                               ;   in Loop: Header=BB15_68 Depth=3
	v_mov_b32_e32 v23, s41
	ds_read_b128 v[28:31], v23 offset:16
	s_waitcnt lgkmcnt(0)
	v_add_f64 v[6:7], v[6:7], v[28:29]
	v_add_f64 v[4:5], v[4:5], v[30:31]
.LBB15_78:                              ;   in Loop: Header=BB15_68 Depth=3
	s_or_b64 exec, exec, s[38:39]
	v_cmp_ne_u32_e32 vcc, s42, v14
	s_or_b64 s[38:39], s[22:23], vcc
	s_and_saveexec_b64 s[44:45], s[38:39]
	s_xor_b64 s[38:39], exec, s[44:45]
	s_cbranch_execz .LBB15_81
; %bb.79:                               ;   in Loop: Header=BB15_68 Depth=3
	s_add_i32 s44, s43, 2
	s_cmp_ge_i32 s44, s13
	s_cbranch_scc1 .LBB15_81
; %bb.80:                               ;   in Loop: Header=BB15_68 Depth=3
	flat_load_dwordx4 v[28:31], v[8:9] offset:32
	v_mov_b32_e32 v23, s41
	ds_read_b128 v[32:35], v23 offset:32
	s_waitcnt vmcnt(0) lgkmcnt(0)
	v_mul_f64 v[24:25], v[30:31], v[34:35]
	v_mul_f64 v[34:35], v[28:29], v[34:35]
	v_fma_f64 v[24:25], v[28:29], v[32:33], -v[24:25]
	v_fmac_f64_e32 v[34:35], v[30:31], v[32:33]
	v_add_f64 v[6:7], v[6:7], v[24:25]
	v_add_f64 v[4:5], v[4:5], v[34:35]
.LBB15_81:                              ;   in Loop: Header=BB15_68 Depth=3
	s_andn2_saveexec_b64 s[38:39], s[38:39]
	s_cbranch_execz .LBB15_83
; %bb.82:                               ;   in Loop: Header=BB15_68 Depth=3
	v_mov_b32_e32 v23, s41
	ds_read_b128 v[28:31], v23 offset:32
	s_waitcnt lgkmcnt(0)
	v_add_f64 v[6:7], v[6:7], v[28:29]
	v_add_f64 v[4:5], v[4:5], v[30:31]
.LBB15_83:                              ;   in Loop: Header=BB15_68 Depth=3
	s_or_b64 exec, exec, s[38:39]
	v_cmp_ne_u32_e32 vcc, s42, v13
	s_or_b64 s[38:39], s[22:23], vcc
	s_and_saveexec_b64 s[44:45], s[38:39]
	s_xor_b64 s[38:39], exec, s[44:45]
	s_cbranch_execz .LBB15_86
; %bb.84:                               ;   in Loop: Header=BB15_68 Depth=3
	s_add_i32 s43, s43, 3
	s_cmp_ge_i32 s43, s13
	s_cbranch_scc1 .LBB15_86
; %bb.85:                               ;   in Loop: Header=BB15_68 Depth=3
	flat_load_dwordx4 v[28:31], v[8:9] offset:48
	v_mov_b32_e32 v23, s41
	ds_read_b128 v[32:35], v23 offset:48
	s_waitcnt vmcnt(0) lgkmcnt(0)
	v_mul_f64 v[24:25], v[30:31], v[34:35]
	v_mul_f64 v[34:35], v[28:29], v[34:35]
	v_fma_f64 v[24:25], v[28:29], v[32:33], -v[24:25]
	v_fmac_f64_e32 v[34:35], v[30:31], v[32:33]
	v_add_f64 v[6:7], v[6:7], v[24:25]
	v_add_f64 v[4:5], v[4:5], v[34:35]
.LBB15_86:                              ;   in Loop: Header=BB15_68 Depth=3
	s_andn2_saveexec_b64 s[38:39], s[38:39]
	s_cbranch_execz .LBB15_67
; %bb.87:                               ;   in Loop: Header=BB15_68 Depth=3
	v_mov_b32_e32 v23, s41
	ds_read_b128 v[28:31], v23 offset:48
	s_waitcnt lgkmcnt(0)
	v_add_f64 v[6:7], v[6:7], v[28:29]
	v_add_f64 v[4:5], v[4:5], v[30:31]
	s_branch .LBB15_67
.LBB15_88:                              ;   in Loop: Header=BB15_48 Depth=1
	s_or_b64 exec, exec, s[30:31]
.LBB15_89:                              ;   in Loop: Header=BB15_48 Depth=1
	s_and_saveexec_b64 s[30:31], s[0:1]
	s_cbranch_execz .LBB15_47
; %bb.90:                               ;   in Loop: Header=BB15_48 Depth=1
	v_mad_u64_u32 v[6:7], s[0:1], s6, v27, 0
	ds_read2_b64 v[2:5], v26 offset1:1
	v_mov_b32_e32 v8, v7
	v_mad_u64_u32 v[8:9], s[0:1], s7, v27, v[8:9]
	v_mov_b32_e32 v7, v8
	v_lshl_add_u64 v[6:7], v[6:7], 4, s[4:5]
	s_waitcnt lgkmcnt(0)
	flat_store_dwordx4 v[6:7], v[2:5]
	s_branch .LBB15_47
.LBB15_91:
	s_mov_b64 s[0:1], 0
.LBB15_92:
	s_andn2_b64 vcc, exec, s[0:1]
	s_cbranch_vccnz .LBB15_166
; %bb.93:
	s_mov_b64 s[0:1], -1
	s_and_b64 vcc, exec, s[20:21]
	s_cbranch_vccz .LBB15_132
; %bb.94:
	s_andn2_b64 vcc, exec, s[14:15]
	s_cbranch_vccnz .LBB15_131
; %bb.95:
	s_lshl_b32 s20, s13, 1
	s_or_b32 s12, s20, 1
	s_ashr_i32 s21, s20, 31
	s_add_u32 s16, s16, s18
	s_addc_u32 s17, s17, s19
	s_lshl_b64 s[0:1], s[20:21], 9
	s_add_u32 s44, s0, 0xfffc0200
	s_addc_u32 s45, s1, -1
	s_add_u32 s40, s0, 0xfffbfe00
	s_addc_u32 s41, s1, -1
	s_lshl_b64 s[0:1], s[20:21], 1
	s_add_u32 s18, s0, -6
	v_mov_b32_e32 v1, 0
	s_addc_u32 s19, s1, -1
	v_lshlrev_b32_e32 v14, 4, v0
	v_mov_b32_e32 v15, v1
	s_add_u32 s22, s0, -2
	s_movk_i32 s34, 0xffe0
	v_lshl_add_u64 v[16:17], s[16:17], 0, v[14:15]
	v_or_b32_e32 v18, 0x200, v0
	s_addc_u32 s23, s1, -1
	s_mov_b64 s[24:25], -1
	s_mov_b64 s[26:27], 0
	s_mov_b64 s[28:29], 0x200
	;; [unrolled: 1-line block ×3, first 2 shown]
	s_mov_b32 s35, -1
	s_mov_b64 s[36:37], 0x2000
	s_mov_b64 s[38:39], 0
	;; [unrolled: 1-line block ×4, first 2 shown]
	s_branch .LBB15_97
.LBB15_96:                              ;   in Loop: Header=BB15_97 Depth=1
	s_or_b64 exec, exec, s[46:47]
	s_add_u32 s0, s44, 0xfff80000
	s_addc_u32 s1, s45, -1
	s_add_u32 s26, s26, s44
	s_addc_u32 s27, s27, s45
	s_add_u32 s42, s42, 0xfffffc00
	s_addc_u32 s43, s43, -1
	s_add_u32 s24, s24, 0xfffffe00
	s_addc_u32 s25, s25, -1
	;; [unrolled: 2-line block ×3, first 2 shown]
	s_add_u32 s20, s20, s40
	s_addc_u32 s21, s21, s41
	s_add_u32 s18, s18, 0xfffff800
	s_addc_u32 s19, s19, -1
	s_add_u32 s38, s38, 0xfffffe00
	s_addc_u32 s39, s39, -1
	s_add_u32 s22, s22, 0xfffff800
	v_add_u32_e32 v18, 0x200, v18
	s_addc_u32 s23, s23, -1
	s_and_b64 vcc, exec, s[48:49]
	s_mov_b64 s[40:41], s[44:45]
	s_mov_b64 s[44:45], s[0:1]
	s_mov_b64 s[46:47], s[2:3]
	s_waitcnt lgkmcnt(0)
	s_barrier
	s_cbranch_vccnz .LBB15_131
.LBB15_97:                              ; =>This Loop Header: Depth=1
                                        ;     Child Loop BB15_101 Depth 2
                                        ;     Child Loop BB15_114 Depth 2
                                        ;       Child Loop BB15_116 Depth 3
	v_add_u32_e32 v15, s46, v0
	v_cmp_le_i32_e32 vcc, s13, v15
	v_cmp_gt_i32_e64 s[0:1], s13, v15
	s_and_saveexec_b64 s[2:3], s[0:1]
	s_cbranch_execz .LBB15_99
; %bb.98:                               ;   in Loop: Header=BB15_97 Depth=1
	v_mad_u64_u32 v[2:3], s[48:49], s6, v15, 0
	v_mov_b32_e32 v4, v3
	v_mad_u64_u32 v[4:5], s[48:49], s7, v15, v[4:5]
	v_mov_b32_e32 v3, v4
	v_lshl_add_u64 v[2:3], v[2:3], 4, s[4:5]
	flat_load_dwordx4 v[2:5], v[2:3]
	s_waitcnt vmcnt(0) lgkmcnt(0)
	ds_write2_b64 v14, v[2:3], v[4:5] offset1:1
.LBB15_99:                              ;   in Loop: Header=BB15_97 Depth=1
	s_or_b64 exec, exec, s[2:3]
	v_or_b32_e32 v5, s46, v0
	v_sub_u32_e32 v2, s12, v5
	v_ashrrev_i32_e32 v6, 31, v2
	v_mad_u64_u32 v[2:3], s[48:49], v2, v5, 0
	v_mov_b32_e32 v4, v3
	v_cmp_le_i32_e64 s[2:3], s13, v5
	v_mad_u64_u32 v[4:5], s[48:49], v6, v5, v[4:5]
	v_mov_b32_e32 v3, v4
	v_lshlrev_b64 v[2:3], 3, v[2:3]
	v_and_b32_e32 v2, -16, v2
	v_lshl_add_u64 v[20:21], s[10:11], 0, v[2:3]
	s_mov_b64 s[48:49], 0
	s_mov_b32 s33, 0
	s_xor_b64 s[50:51], vcc, -1
	s_mov_b64 s[52:53], s[26:27]
	s_mov_b64 s[54:55], s[42:43]
	v_mov_b64_e32 v[22:23], v[16:17]
	s_waitcnt lgkmcnt(0)
	s_barrier
	s_branch .LBB15_101
.LBB15_100:                             ;   in Loop: Header=BB15_101 Depth=2
	s_or_b64 exec, exec, s[56:57]
	s_add_u32 s48, s48, 1
	s_addc_u32 s49, s49, 0
	s_add_u32 s56, s54, -2
	s_addc_u32 s57, s55, -1
	s_add_u32 s52, s52, s54
	s_addc_u32 s53, s53, s55
	s_add_i32 s33, s33, 16
	v_lshl_add_u64 v[22:23], v[22:23], 0, -16
	s_cmpk_eq_i32 s48, 0x200
	s_mov_b64 s[54:55], s[56:57]
	s_cbranch_scc1 .LBB15_110
.LBB15_101:                             ;   Parent Loop BB15_97 Depth=1
                                        ; =>  This Inner Loop Header: Depth=2
	v_cmp_ne_u32_e32 vcc, s48, v0
	s_or_b64 s[56:57], s[8:9], vcc
	s_nor_b64 s[58:59], s[56:57], s[2:3]
	s_and_saveexec_b64 s[56:57], s[58:59]
	s_cbranch_execz .LBB15_107
; %bb.102:                              ;   in Loop: Header=BB15_101 Depth=2
	flat_load_dwordx4 v[2:5], v[20:21]
	ds_read_b128 v[6:9], v14
                                        ; implicit-def: $vgpr10_vgpr11
	s_waitcnt vmcnt(0) lgkmcnt(0)
	v_cmp_ngt_f64_e64 s[58:59], |v[2:3]|, |v[4:5]|
	s_and_saveexec_b64 s[60:61], s[58:59]
	s_xor_b64 s[58:59], exec, s[60:61]
	s_cbranch_execz .LBB15_104
; %bb.103:                              ;   in Loop: Header=BB15_101 Depth=2
	v_div_scale_f64 v[10:11], s[60:61], v[4:5], v[4:5], v[2:3]
	v_rcp_f64_e32 v[12:13], v[10:11]
	v_div_scale_f64 v[24:25], vcc, v[2:3], v[4:5], v[2:3]
	v_fma_f64 v[26:27], -v[10:11], v[12:13], 1.0
	v_fmac_f64_e32 v[12:13], v[12:13], v[26:27]
	v_fma_f64 v[26:27], -v[10:11], v[12:13], 1.0
	v_fmac_f64_e32 v[12:13], v[12:13], v[26:27]
	v_mul_f64 v[26:27], v[24:25], v[12:13]
	v_fma_f64 v[10:11], -v[10:11], v[26:27], v[24:25]
	v_div_fmas_f64 v[10:11], v[10:11], v[12:13], v[26:27]
	v_div_fixup_f64 v[12:13], v[10:11], v[4:5], v[2:3]
	v_fmac_f64_e32 v[4:5], v[2:3], v[12:13]
	v_div_scale_f64 v[2:3], s[60:61], v[4:5], v[4:5], 1.0
	v_rcp_f64_e32 v[10:11], v[2:3]
	s_nop 0
	v_fma_f64 v[24:25], -v[2:3], v[10:11], 1.0
	v_fmac_f64_e32 v[10:11], v[10:11], v[24:25]
	v_fma_f64 v[24:25], -v[2:3], v[10:11], 1.0
	v_fmac_f64_e32 v[10:11], v[10:11], v[24:25]
	v_div_scale_f64 v[24:25], vcc, 1.0, v[4:5], 1.0
	v_mul_f64 v[26:27], v[24:25], v[10:11]
	v_fma_f64 v[2:3], -v[2:3], v[26:27], v[24:25]
	s_nop 1
	v_div_fmas_f64 v[2:3], v[2:3], v[10:11], v[26:27]
	v_div_fixup_f64 v[2:3], v[2:3], v[4:5], 1.0
	v_fma_f64 v[4:5], v[12:13], v[6:7], v[8:9]
	v_mul_f64 v[10:11], v[4:5], v[2:3]
	v_fma_f64 v[4:5], v[12:13], v[8:9], -v[6:7]
	v_mul_f64 v[12:13], v[2:3], v[4:5]
                                        ; implicit-def: $vgpr2_vgpr3
                                        ; implicit-def: $vgpr8_vgpr9
.LBB15_104:                             ;   in Loop: Header=BB15_101 Depth=2
	s_andn2_saveexec_b64 s[58:59], s[58:59]
	s_cbranch_execz .LBB15_106
; %bb.105:                              ;   in Loop: Header=BB15_101 Depth=2
	v_div_scale_f64 v[10:11], s[60:61], v[2:3], v[2:3], v[4:5]
	v_rcp_f64_e32 v[12:13], v[10:11]
	v_div_scale_f64 v[24:25], vcc, v[4:5], v[2:3], v[4:5]
	v_fma_f64 v[26:27], -v[10:11], v[12:13], 1.0
	v_fmac_f64_e32 v[12:13], v[12:13], v[26:27]
	v_fma_f64 v[26:27], -v[10:11], v[12:13], 1.0
	v_fmac_f64_e32 v[12:13], v[12:13], v[26:27]
	v_mul_f64 v[26:27], v[24:25], v[12:13]
	v_fma_f64 v[10:11], -v[10:11], v[26:27], v[24:25]
	v_div_fmas_f64 v[10:11], v[10:11], v[12:13], v[26:27]
	v_div_fixup_f64 v[12:13], v[10:11], v[2:3], v[4:5]
	v_fmac_f64_e32 v[2:3], v[4:5], v[12:13]
	v_div_scale_f64 v[4:5], s[60:61], v[2:3], v[2:3], 1.0
	v_rcp_f64_e32 v[10:11], v[4:5]
	s_nop 0
	v_fma_f64 v[24:25], -v[4:5], v[10:11], 1.0
	v_fmac_f64_e32 v[10:11], v[10:11], v[24:25]
	v_fma_f64 v[24:25], -v[4:5], v[10:11], 1.0
	v_fmac_f64_e32 v[10:11], v[10:11], v[24:25]
	v_div_scale_f64 v[24:25], vcc, 1.0, v[2:3], 1.0
	v_mul_f64 v[26:27], v[24:25], v[10:11]
	v_fma_f64 v[4:5], -v[4:5], v[26:27], v[24:25]
	s_nop 1
	v_div_fmas_f64 v[4:5], v[4:5], v[10:11], v[26:27]
	v_div_fixup_f64 v[2:3], v[4:5], v[2:3], 1.0
	v_fma_f64 v[4:5], v[12:13], v[8:9], v[6:7]
	v_mul_f64 v[10:11], v[2:3], v[4:5]
	v_fma_f64 v[4:5], -v[12:13], v[6:7], v[8:9]
	v_mul_f64 v[12:13], v[4:5], v[2:3]
.LBB15_106:                             ;   in Loop: Header=BB15_101 Depth=2
	s_or_b64 exec, exec, s[58:59]
	ds_write_b128 v14, v[10:13]
.LBB15_107:                             ;   in Loop: Header=BB15_101 Depth=2
	s_or_b64 exec, exec, s[56:57]
	v_cmp_lt_u32_e32 vcc, s48, v0
	s_waitcnt lgkmcnt(0)
	s_barrier
	s_and_saveexec_b64 s[56:57], vcc
	s_cbranch_execz .LBB15_100
; %bb.108:                              ;   in Loop: Header=BB15_101 Depth=2
	s_add_i32 s58, s46, s48
	s_cmp_lt_i32 s58, s13
	s_cselect_b64 s[58:59], -1, 0
	s_and_b64 s[58:59], s[50:51], s[58:59]
	s_and_b64 exec, exec, s[58:59]
	s_cbranch_execz .LBB15_100
; %bb.109:                              ;   in Loop: Header=BB15_101 Depth=2
	s_lshl_b64 s[58:59], s[52:53], 3
	s_and_b32 s58, s58, -16
	v_lshl_add_u64 v[2:3], v[22:23], 0, s[58:59]
	flat_load_dwordx4 v[2:5], v[2:3]
	v_mov_b32_e32 v6, s33
	ds_read_b128 v[6:9], v6
	ds_read_b128 v[10:13], v14
	s_waitcnt vmcnt(0) lgkmcnt(0)
	v_mul_f64 v[24:25], v[4:5], v[8:9]
	v_mul_f64 v[8:9], v[2:3], v[8:9]
	v_fma_f64 v[2:3], v[2:3], v[6:7], -v[24:25]
	v_fmac_f64_e32 v[8:9], v[4:5], v[6:7]
	v_add_f64 v[2:3], v[10:11], -v[2:3]
	v_add_f64 v[4:5], v[12:13], -v[8:9]
	ds_write_b128 v14, v[2:5]
	s_branch .LBB15_100
.LBB15_110:                             ;   in Loop: Header=BB15_97 Depth=1
	s_add_u32 s2, s46, 0x200
	s_addc_u32 s3, s47, 0
	s_cmp_ge_i32 s2, s13
	s_cselect_b64 s[48:49], -1, 0
	s_and_b64 vcc, exec, s[48:49]
	s_waitcnt lgkmcnt(0)
	s_barrier
	s_cbranch_vccnz .LBB15_129
; %bb.111:                              ;   in Loop: Header=BB15_97 Depth=1
	v_ashrrev_i32_e32 v19, 31, v18
	v_lshl_add_u64 v[2:3], s[24:25], 0, v[18:19]
	v_lshl_add_u64 v[4:5], s[38:39], 0, v[18:19]
	s_mov_b32 s33, s2
	v_lshl_add_u64 v[2:3], v[2:3], 4, s[16:17]
	v_lshl_add_u64 v[4:5], v[4:5], 4, s[16:17]
	s_mov_b64 s[50:51], 0
	v_mov_b64_e32 v[6:7], v[0:1]
                                        ; implicit-def: $sgpr52_sgpr53
	s_branch .LBB15_114
.LBB15_112:                             ;   in Loop: Header=BB15_114 Depth=2
	v_mad_u64_u32 v[12:13], s[56:57], s6, v19, 0
	v_mov_b32_e32 v20, v13
	v_mad_u64_u32 v[20:21], s[56:57], s7, v19, v[20:21]
	v_mov_b32_e32 v13, v20
	v_lshl_add_u64 v[24:25], v[12:13], 4, s[4:5]
	flat_load_dwordx4 v[20:23], v[24:25]
	s_addk_i32 s33, 0x200
	s_cmp_ge_i32 s33, s13
	s_cselect_b64 s[56:57], -1, 0
	s_andn2_b64 s[52:53], s[52:53], exec
	s_and_b64 s[56:57], s[56:57], exec
	v_lshl_add_u64 v[2:3], v[2:3], 0, s[36:37]
	v_lshl_add_u64 v[4:5], v[4:5], 0, s[36:37]
	s_or_b64 s[52:53], s[52:53], s[56:57]
	s_waitcnt vmcnt(0) lgkmcnt(0)
	v_add_f64 v[10:11], v[20:21], -v[10:11]
	v_add_f64 v[12:13], v[22:23], -v[8:9]
	flat_store_dwordx4 v[24:25], v[10:13]
.LBB15_113:                             ;   in Loop: Header=BB15_114 Depth=2
	s_or_b64 exec, exec, s[54:55]
	s_and_b64 s[54:55], exec, s[52:53]
	s_or_b64 s[50:51], s[54:55], s[50:51]
	s_andn2_b64 exec, exec, s[50:51]
	s_cbranch_execz .LBB15_128
.LBB15_114:                             ;   Parent Loop BB15_97 Depth=1
                                        ; =>  This Loop Header: Depth=2
                                        ;       Child Loop BB15_116 Depth 3
	v_add_u32_e32 v19, s33, v0
	v_cmp_gt_i32_e32 vcc, s13, v19
	s_or_b64 s[52:53], s[52:53], exec
	s_and_saveexec_b64 s[54:55], vcc
	s_cbranch_execz .LBB15_113
; %bb.115:                              ;   in Loop: Header=BB15_114 Depth=2
	v_lshl_add_u64 v[12:13], v[6:7], 0, s[30:31]
	v_lshl_add_u64 v[6:7], v[6:7], 0, s[28:29]
	v_mov_b64_e32 v[8:9], 0
	s_mov_b64 s[56:57], 0
	s_mov_b32 s47, 0
	s_mov_b64 s[58:59], s[26:27]
	s_mov_b64 s[62:63], s[22:23]
	v_mov_b64_e32 v[20:21], v[4:5]
	s_mov_b64 s[60:61], s[20:21]
	s_mov_b64 s[64:65], s[18:19]
	v_mov_b64_e32 v[22:23], v[2:3]
	v_mov_b64_e32 v[10:11], 0
.LBB15_116:                             ;   Parent Loop BB15_97 Depth=1
                                        ;     Parent Loop BB15_114 Depth=2
                                        ; =>    This Inner Loop Header: Depth=3
	v_cmp_ne_u32_e32 vcc, s56, v6
	s_xor_b64 s[66:67], s[8:9], -1
	s_add_u32 s70, s46, s56
	s_or_b64 s[68:69], s[66:67], vcc
	s_and_saveexec_b64 s[72:73], s[68:69]
	s_xor_b64 s[68:69], exec, s[72:73]
	s_cbranch_execz .LBB15_119
; %bb.117:                              ;   in Loop: Header=BB15_116 Depth=3
	s_cmp_ge_i32 s70, s13
	s_cbranch_scc1 .LBB15_119
; %bb.118:                              ;   in Loop: Header=BB15_116 Depth=3
	s_lshl_b64 s[72:73], s[58:59], 3
	s_and_b32 s72, s72, -16
	v_lshl_add_u64 v[24:25], v[20:21], 0, s[72:73]
	flat_load_dwordx4 v[24:27], v[24:25]
	v_mov_b32_e32 v13, s47
	ds_read_b128 v[28:31], v13
	s_waitcnt vmcnt(0) lgkmcnt(0)
	v_mul_f64 v[32:33], v[26:27], v[30:31]
	v_mul_f64 v[30:31], v[24:25], v[30:31]
	v_fma_f64 v[24:25], v[24:25], v[28:29], -v[32:33]
	v_fmac_f64_e32 v[30:31], v[26:27], v[28:29]
	v_add_f64 v[10:11], v[10:11], v[24:25]
	v_add_f64 v[8:9], v[8:9], v[30:31]
.LBB15_119:                             ;   in Loop: Header=BB15_116 Depth=3
	s_andn2_saveexec_b64 s[68:69], s[68:69]
	s_cbranch_execz .LBB15_121
; %bb.120:                              ;   in Loop: Header=BB15_116 Depth=3
	v_mov_b32_e32 v13, s47
	ds_read_b128 v[24:27], v13
	s_waitcnt lgkmcnt(0)
	v_add_f64 v[10:11], v[10:11], v[24:25]
	v_add_f64 v[8:9], v[8:9], v[26:27]
.LBB15_121:                             ;   in Loop: Header=BB15_116 Depth=3
	s_or_b64 exec, exec, s[68:69]
	v_cmp_ne_u32_e32 vcc, s56, v12
	s_or_b64 s[66:67], s[66:67], vcc
	s_and_saveexec_b64 s[68:69], s[66:67]
	s_xor_b64 s[66:67], exec, s[68:69]
	s_cbranch_execz .LBB15_124
; %bb.122:                              ;   in Loop: Header=BB15_116 Depth=3
	s_add_i32 s70, s70, 1
	s_cmp_ge_i32 s70, s13
	s_cbranch_scc1 .LBB15_124
; %bb.123:                              ;   in Loop: Header=BB15_116 Depth=3
	s_lshl_b64 s[68:69], s[60:61], 3
	s_and_b32 s68, s68, -16
	v_lshl_add_u64 v[24:25], v[22:23], 0, s[68:69]
	flat_load_dwordx4 v[24:27], v[24:25]
	v_mov_b32_e32 v13, s47
	ds_read_b128 v[28:31], v13 offset:16
	s_waitcnt vmcnt(0) lgkmcnt(0)
	v_mul_f64 v[32:33], v[26:27], v[30:31]
	v_mul_f64 v[30:31], v[24:25], v[30:31]
	v_fma_f64 v[24:25], v[24:25], v[28:29], -v[32:33]
	v_fmac_f64_e32 v[30:31], v[26:27], v[28:29]
	v_add_f64 v[10:11], v[10:11], v[24:25]
	v_add_f64 v[8:9], v[8:9], v[30:31]
.LBB15_124:                             ;   in Loop: Header=BB15_116 Depth=3
	s_andn2_saveexec_b64 s[66:67], s[66:67]
	s_cbranch_execz .LBB15_126
; %bb.125:                              ;   in Loop: Header=BB15_116 Depth=3
	v_mov_b32_e32 v13, s47
	ds_read_b128 v[24:27], v13 offset:16
	s_waitcnt lgkmcnt(0)
	v_add_f64 v[10:11], v[10:11], v[24:25]
	v_add_f64 v[8:9], v[8:9], v[26:27]
.LBB15_126:                             ;   in Loop: Header=BB15_116 Depth=3
	s_or_b64 exec, exec, s[66:67]
	s_add_u32 s56, s56, 2
	s_addc_u32 s57, s57, 0
	s_add_u32 s66, s64, -8
	s_addc_u32 s67, s65, -1
	s_add_u32 s60, s60, s64
	s_addc_u32 s61, s61, s65
	s_add_i32 s47, s47, 32
	s_add_u32 s64, s62, -8
	s_addc_u32 s65, s63, -1
	s_add_u32 s58, s58, s62
	s_addc_u32 s59, s59, s63
	v_lshl_add_u64 v[22:23], v[22:23], 0, s[34:35]
	s_cmpk_eq_i32 s56, 0x200
	v_lshl_add_u64 v[20:21], v[20:21], 0, s[34:35]
	s_cbranch_scc1 .LBB15_112
; %bb.127:                              ;   in Loop: Header=BB15_116 Depth=3
	s_mov_b64 s[62:63], s[64:65]
	s_mov_b64 s[64:65], s[66:67]
	s_branch .LBB15_116
.LBB15_128:                             ;   in Loop: Header=BB15_97 Depth=1
	s_or_b64 exec, exec, s[50:51]
.LBB15_129:                             ;   in Loop: Header=BB15_97 Depth=1
	s_and_saveexec_b64 s[46:47], s[0:1]
	s_cbranch_execz .LBB15_96
; %bb.130:                              ;   in Loop: Header=BB15_97 Depth=1
	v_mad_u64_u32 v[6:7], s[0:1], s6, v15, 0
	ds_read2_b64 v[2:5], v14 offset1:1
	v_mov_b32_e32 v8, v7
	v_mad_u64_u32 v[8:9], s[0:1], s7, v15, v[8:9]
	v_mov_b32_e32 v7, v8
	v_lshl_add_u64 v[6:7], v[6:7], 4, s[4:5]
	s_waitcnt lgkmcnt(0)
	flat_store_dwordx4 v[6:7], v[2:5]
	s_branch .LBB15_96
.LBB15_131:
	s_mov_b64 s[0:1], 0
.LBB15_132:
	s_andn2_b64 vcc, exec, s[0:1]
	s_cbranch_vccnz .LBB15_166
; %bb.133:
	s_andn2_b64 vcc, exec, s[14:15]
	s_cbranch_vccnz .LBB15_166
; %bb.134:
	v_mov_b32_e32 v1, 0x2000
	v_mov_b32_e32 v15, 0
	s_movk_i32 s18, 0xfe00
	s_add_i32 s37, s13, 0xfffffe00
	v_lshl_or_b32 v28, v0, 4, v1
	s_mov_b32 s33, 0
	s_mov_b32 s36, s13
	v_mov_b32_e32 v1, v15
	s_mov_b64 s[12:13], 0xfffffdff
	s_mov_b64 s[14:15], 0xfffffe00
	s_xor_b64 s[16:17], s[8:9], -1
	s_mov_b32 s19, -1
	s_branch .LBB15_136
.LBB15_135:                             ;   in Loop: Header=BB15_136 Depth=1
	s_or_b64 exec, exec, s[20:21]
	s_add_u32 s36, s36, 0xfffffe00
	s_addc_u32 s33, s33, -1
	s_and_b64 vcc, exec, s[2:3]
	s_mov_b32 s37, s38
	s_waitcnt lgkmcnt(0)
	s_barrier
	s_cbranch_vccnz .LBB15_166
.LBB15_136:                             ; =>This Loop Header: Depth=1
                                        ;     Child Loop BB15_140 Depth 2
                                        ;     Child Loop BB15_152 Depth 2
                                        ;       Child Loop BB15_155 Depth 3
	v_add_u32_e32 v16, s37, v0
	v_cmp_gt_i32_e32 vcc, 0, v16
	v_cmp_lt_i32_e64 s[0:1], -1, v16
	v_mov_b32_e32 v17, v15
	s_and_saveexec_b64 s[2:3], s[0:1]
	s_cbranch_execz .LBB15_138
; %bb.137:                              ;   in Loop: Header=BB15_136 Depth=1
	v_mad_u64_u32 v[2:3], s[20:21], s6, v16, 0
	v_mov_b32_e32 v4, v3
	v_mad_u64_u32 v[4:5], s[20:21], s7, v16, v[4:5]
	v_mov_b32_e32 v3, v4
	v_lshl_add_u64 v[2:3], v[2:3], 4, s[4:5]
	flat_load_dwordx4 v[2:5], v[2:3]
	s_waitcnt vmcnt(0) lgkmcnt(0)
	ds_write2_b64 v28, v[2:3], v[4:5] offset1:1
.LBB15_138:                             ;   in Loop: Header=BB15_136 Depth=1
	s_or_b64 exec, exec, s[2:3]
	v_add_u32_e32 v4, 1, v16
	v_ashrrev_i32_e32 v3, 31, v16
	v_mov_b32_e32 v2, v16
	v_mad_u64_u32 v[4:5], s[2:3], v16, v4, 0
	v_lshl_add_u64 v[18:19], v[2:3], 4, s[10:11]
	v_lshlrev_b64 v[2:3], 3, v[4:5]
	v_lshl_add_u64 v[6:7], v[16:17], 4, s[10:11]
	v_and_b32_e32 v2, -16, v2
	s_or_b64 s[2:3], s[8:9], vcc
	v_lshl_add_u64 v[20:21], v[6:7], 0, v[2:3]
	s_movk_i32 s24, 0x1ff
	s_movk_i32 s25, 0x3ff0
	s_xor_b64 s[20:21], s[2:3], -1
	s_waitcnt lgkmcnt(0)
	s_barrier
	s_branch .LBB15_140
.LBB15_139:                             ;   in Loop: Header=BB15_140 Depth=2
	s_or_b64 exec, exec, s[2:3]
	s_add_i32 s24, s24, -1
	s_add_i32 s25, s25, -16
	s_cmp_eq_u32 s24, -1
	s_cbranch_scc1 .LBB15_148
.LBB15_140:                             ;   Parent Loop BB15_136 Depth=1
                                        ; =>  This Inner Loop Header: Depth=2
	v_cmp_eq_u32_e32 vcc, s24, v0
	s_and_b64 s[22:23], vcc, s[20:21]
	s_and_saveexec_b64 s[2:3], s[22:23]
	s_cbranch_execz .LBB15_146
; %bb.141:                              ;   in Loop: Header=BB15_140 Depth=2
	flat_load_dwordx4 v[2:5], v[20:21]
	ds_read_b128 v[6:9], v28
                                        ; implicit-def: $vgpr10_vgpr11
	s_waitcnt vmcnt(0) lgkmcnt(0)
	v_cmp_ngt_f64_e64 s[22:23], |v[2:3]|, |v[4:5]|
	s_and_saveexec_b64 s[26:27], s[22:23]
	s_xor_b64 s[22:23], exec, s[26:27]
	s_cbranch_execz .LBB15_143
; %bb.142:                              ;   in Loop: Header=BB15_140 Depth=2
	v_div_scale_f64 v[10:11], s[26:27], v[4:5], v[4:5], v[2:3]
	v_rcp_f64_e32 v[12:13], v[10:11]
	v_div_scale_f64 v[22:23], vcc, v[2:3], v[4:5], v[2:3]
	v_fma_f64 v[24:25], -v[10:11], v[12:13], 1.0
	v_fmac_f64_e32 v[12:13], v[12:13], v[24:25]
	v_fma_f64 v[24:25], -v[10:11], v[12:13], 1.0
	v_fmac_f64_e32 v[12:13], v[12:13], v[24:25]
	v_mul_f64 v[24:25], v[22:23], v[12:13]
	v_fma_f64 v[10:11], -v[10:11], v[24:25], v[22:23]
	v_div_fmas_f64 v[10:11], v[10:11], v[12:13], v[24:25]
	v_div_fixup_f64 v[12:13], v[10:11], v[4:5], v[2:3]
	v_fmac_f64_e32 v[4:5], v[2:3], v[12:13]
	v_div_scale_f64 v[2:3], s[26:27], v[4:5], v[4:5], 1.0
	v_rcp_f64_e32 v[10:11], v[2:3]
	s_nop 0
	v_fma_f64 v[22:23], -v[2:3], v[10:11], 1.0
	v_fmac_f64_e32 v[10:11], v[10:11], v[22:23]
	v_fma_f64 v[22:23], -v[2:3], v[10:11], 1.0
	v_fmac_f64_e32 v[10:11], v[10:11], v[22:23]
	v_div_scale_f64 v[22:23], vcc, 1.0, v[4:5], 1.0
	v_mul_f64 v[24:25], v[22:23], v[10:11]
	v_fma_f64 v[2:3], -v[2:3], v[24:25], v[22:23]
	s_nop 1
	v_div_fmas_f64 v[2:3], v[2:3], v[10:11], v[24:25]
	v_div_fixup_f64 v[2:3], v[2:3], v[4:5], 1.0
	v_fma_f64 v[4:5], v[12:13], v[6:7], v[8:9]
	v_mul_f64 v[10:11], v[4:5], v[2:3]
	v_fma_f64 v[4:5], v[12:13], v[8:9], -v[6:7]
	v_mul_f64 v[12:13], v[2:3], v[4:5]
                                        ; implicit-def: $vgpr2_vgpr3
                                        ; implicit-def: $vgpr8_vgpr9
.LBB15_143:                             ;   in Loop: Header=BB15_140 Depth=2
	s_andn2_saveexec_b64 s[22:23], s[22:23]
	s_cbranch_execz .LBB15_145
; %bb.144:                              ;   in Loop: Header=BB15_140 Depth=2
	v_div_scale_f64 v[10:11], s[26:27], v[2:3], v[2:3], v[4:5]
	v_rcp_f64_e32 v[12:13], v[10:11]
	v_div_scale_f64 v[22:23], vcc, v[4:5], v[2:3], v[4:5]
	v_fma_f64 v[24:25], -v[10:11], v[12:13], 1.0
	v_fmac_f64_e32 v[12:13], v[12:13], v[24:25]
	v_fma_f64 v[24:25], -v[10:11], v[12:13], 1.0
	v_fmac_f64_e32 v[12:13], v[12:13], v[24:25]
	v_mul_f64 v[24:25], v[22:23], v[12:13]
	v_fma_f64 v[10:11], -v[10:11], v[24:25], v[22:23]
	v_div_fmas_f64 v[10:11], v[10:11], v[12:13], v[24:25]
	v_div_fixup_f64 v[12:13], v[10:11], v[2:3], v[4:5]
	v_fmac_f64_e32 v[2:3], v[4:5], v[12:13]
	v_div_scale_f64 v[4:5], s[26:27], v[2:3], v[2:3], 1.0
	v_rcp_f64_e32 v[10:11], v[4:5]
	s_nop 0
	v_fma_f64 v[22:23], -v[4:5], v[10:11], 1.0
	v_fmac_f64_e32 v[10:11], v[10:11], v[22:23]
	v_fma_f64 v[22:23], -v[4:5], v[10:11], 1.0
	v_fmac_f64_e32 v[10:11], v[10:11], v[22:23]
	v_div_scale_f64 v[22:23], vcc, 1.0, v[2:3], 1.0
	v_mul_f64 v[24:25], v[22:23], v[10:11]
	v_fma_f64 v[4:5], -v[4:5], v[24:25], v[22:23]
	s_nop 1
	v_div_fmas_f64 v[4:5], v[4:5], v[10:11], v[24:25]
	v_div_fixup_f64 v[2:3], v[4:5], v[2:3], 1.0
	v_fma_f64 v[4:5], v[12:13], v[8:9], v[6:7]
	v_mul_f64 v[10:11], v[2:3], v[4:5]
	v_fma_f64 v[4:5], -v[12:13], v[6:7], v[8:9]
	v_mul_f64 v[12:13], v[4:5], v[2:3]
.LBB15_145:                             ;   in Loop: Header=BB15_140 Depth=2
	s_or_b64 exec, exec, s[22:23]
	ds_write_b128 v28, v[10:13]
.LBB15_146:                             ;   in Loop: Header=BB15_140 Depth=2
	s_or_b64 exec, exec, s[2:3]
	s_add_i32 s23, s36, s24
	s_add_i32 s22, s23, 0xfffffe00
	v_or_b32_e32 v2, s22, v16
	v_cmp_gt_u32_e32 vcc, s24, v0
	v_cmp_lt_i32_e64 s[2:3], -1, v2
	s_and_b64 s[26:27], vcc, s[2:3]
	s_waitcnt lgkmcnt(0)
	s_barrier
	s_and_saveexec_b64 s[2:3], s[26:27]
	s_cbranch_execz .LBB15_139
; %bb.147:                              ;   in Loop: Header=BB15_140 Depth=2
	s_add_i32 s26, s23, 0xfffffe01
	s_mul_hi_u32 s23, s26, s22
	s_mul_i32 s22, s26, s22
	s_lshl_b64 s[22:23], s[22:23], 3
	s_and_b32 s22, s22, -16
	v_lshl_add_u64 v[2:3], v[18:19], 0, s[22:23]
	flat_load_dwordx4 v[2:5], v[2:3]
	v_mov_b32_e32 v6, s25
	ds_read_b128 v[6:9], v6
	ds_read_b128 v[10:13], v28
	s_waitcnt vmcnt(0) lgkmcnt(0)
	v_mul_f64 v[22:23], v[4:5], v[8:9]
	v_mul_f64 v[8:9], v[2:3], v[8:9]
	v_fma_f64 v[2:3], v[2:3], v[6:7], -v[22:23]
	v_fmac_f64_e32 v[8:9], v[4:5], v[6:7]
	v_add_f64 v[2:3], v[10:11], -v[2:3]
	v_add_f64 v[4:5], v[12:13], -v[8:9]
	ds_write_b128 v28, v[2:5]
	s_branch .LBB15_139
.LBB15_148:                             ;   in Loop: Header=BB15_136 Depth=1
	s_add_i32 s38, s37, 0xfffffe00
	s_cmp_lt_i32 s37, 1
	s_cselect_b64 s[2:3], -1, 0
	s_and_b64 vcc, exec, s[2:3]
	s_waitcnt lgkmcnt(0)
	s_barrier
	s_cbranch_vccnz .LBB15_164
; %bb.149:                              ;   in Loop: Header=BB15_136 Depth=1
	s_mov_b64 s[20:21], 0
	v_mov_b64_e32 v[10:11], v[0:1]
	s_mov_b32 s39, s38
                                        ; implicit-def: $sgpr22_sgpr23
	s_branch .LBB15_152
.LBB15_150:                             ;   in Loop: Header=BB15_152 Depth=2
	v_mad_u64_u32 v[2:3], s[26:27], s6, v14, 0
	v_mov_b32_e32 v4, v3
	v_mad_u64_u32 v[4:5], s[26:27], s7, v14, v[4:5]
	v_mov_b32_e32 v3, v4
	v_lshl_add_u64 v[6:7], v[2:3], 4, s[4:5]
	flat_load_dwordx4 v[2:5], v[6:7]
	s_add_i32 s28, s39, 0xfffffe00
	s_cmp_lt_i32 s39, 1
	s_cselect_b64 s[26:27], -1, 0
	s_andn2_b64 s[22:23], s[22:23], exec
	s_and_b64 s[26:27], s[26:27], exec
	v_lshl_add_u64 v[10:11], v[10:11], 0, s[18:19]
	s_or_b64 s[22:23], s[22:23], s[26:27]
	s_mov_b32 s39, s28
	s_waitcnt vmcnt(0) lgkmcnt(0)
	v_add_f64 v[2:3], v[2:3], -v[18:19]
	v_add_f64 v[4:5], v[4:5], -v[12:13]
	flat_store_dwordx4 v[6:7], v[2:5]
.LBB15_151:                             ;   in Loop: Header=BB15_152 Depth=2
	s_or_b64 exec, exec, s[24:25]
	s_and_b64 s[24:25], exec, s[22:23]
	s_or_b64 s[20:21], s[24:25], s[20:21]
	s_andn2_b64 exec, exec, s[20:21]
	s_cbranch_execz .LBB15_163
.LBB15_152:                             ;   Parent Loop BB15_136 Depth=1
                                        ; =>  This Loop Header: Depth=2
                                        ;       Child Loop BB15_155 Depth 3
	v_add_u32_e32 v14, s39, v0
	v_cmp_lt_i32_e32 vcc, -1, v14
	s_or_b64 s[22:23], s[22:23], exec
	s_and_saveexec_b64 s[24:25], vcc
	s_cbranch_execz .LBB15_151
; %bb.153:                              ;   in Loop: Header=BB15_152 Depth=2
	v_lshl_add_u64 v[20:21], v[14:15], 4, s[10:11]
	v_lshl_add_u64 v[22:23], v[10:11], 0, s[12:13]
	v_lshl_add_u64 v[24:25], v[10:11], 0, s[14:15]
	v_mov_b64_e32 v[12:13], 0
	s_movk_i32 s40, 0x2000
	s_mov_b64 s[26:27], 0
	v_mov_b64_e32 v[18:19], 0
	s_branch .LBB15_155
.LBB15_154:                             ;   in Loop: Header=BB15_155 Depth=3
	s_or_b64 exec, exec, s[28:29]
	s_add_i32 s40, s40, 32
	s_add_u32 s26, s26, 2
	s_waitcnt lgkmcnt(0)
	v_add_f64 v[4:5], v[12:13], v[4:5]
	v_add_f64 v[2:3], v[18:19], v[2:3]
	s_addc_u32 s27, s27, 0
	v_add_f64 v[12:13], v[4:5], v[8:9]
	s_cmpk_eq_i32 s26, 0x200
	v_add_f64 v[18:19], v[2:3], v[6:7]
	s_cbranch_scc1 .LBB15_150
.LBB15_155:                             ;   Parent Loop BB15_136 Depth=1
                                        ;     Parent Loop BB15_152 Depth=2
                                        ; =>    This Inner Loop Header: Depth=3
	v_cmp_ne_u32_e32 vcc, s26, v24
	s_or_b64 s[34:35], s[16:17], vcc
                                        ; implicit-def: $vgpr4_vgpr5
                                        ; implicit-def: $sgpr28_sgpr29
                                        ; implicit-def: $sgpr30_sgpr31
	s_and_saveexec_b64 s[42:43], s[34:35]
	s_xor_b64 s[34:35], exec, s[42:43]
	s_cbranch_execz .LBB15_157
; %bb.156:                              ;   in Loop: Header=BB15_155 Depth=3
	s_add_u32 s28, s36, s26
	s_addc_u32 s29, s33, s27
	s_add_u32 s30, s28, 0xfffffe01
	s_addc_u32 s31, s29, 0
	;; [unrolled: 2-line block ×3, first 2 shown]
	s_mul_i32 s42, s30, s42
	s_mul_hi_u32 s43, s30, s41
	s_add_i32 s43, s43, s42
	s_mul_i32 s42, s30, s41
	s_lshl_b64 s[42:43], s[42:43], 3
	s_and_b32 s42, s42, -16
	v_lshl_add_u64 v[2:3], v[20:21], 0, s[42:43]
	flat_load_dwordx4 v[6:9], v[2:3]
	v_mov_b32_e32 v2, s40
	ds_read_b128 v[30:33], v2
	s_waitcnt vmcnt(0) lgkmcnt(0)
	v_mul_f64 v[2:3], v[8:9], v[32:33]
	v_mul_f64 v[4:5], v[6:7], v[32:33]
	v_fma_f64 v[2:3], v[6:7], v[30:31], -v[2:3]
	v_fmac_f64_e32 v[4:5], v[8:9], v[30:31]
.LBB15_157:                             ;   in Loop: Header=BB15_155 Depth=3
	s_or_saveexec_b64 s[34:35], s[34:35]
	v_mov_b64_e32 v[6:7], s[30:31]
	v_mov_b64_e32 v[26:27], s[28:29]
	s_xor_b64 exec, exec, s[34:35]
	s_cbranch_execz .LBB15_159
; %bb.158:                              ;   in Loop: Header=BB15_155 Depth=3
	v_mov_b32_e32 v2, s40
	ds_read_b128 v[2:5], v2
	s_add_u32 s28, s36, s26
	s_addc_u32 s29, s33, s27
	s_add_u32 s30, s28, 0xfffffe01
	s_addc_u32 s31, s29, 0
	v_mov_b64_e32 v[6:7], s[30:31]
	v_mov_b64_e32 v[26:27], s[28:29]
.LBB15_159:                             ;   in Loop: Header=BB15_155 Depth=3
	s_or_b64 exec, exec, s[34:35]
	v_cmp_ne_u32_e32 vcc, s26, v22
	s_or_b64 s[28:29], s[16:17], vcc
                                        ; implicit-def: $vgpr8_vgpr9
	s_and_saveexec_b64 s[30:31], s[28:29]
	s_xor_b64 s[28:29], exec, s[30:31]
	s_cbranch_execz .LBB15_161
; %bb.160:                              ;   in Loop: Header=BB15_155 Depth=3
	v_add_u32_e32 v7, 0xfffffe02, v26
	v_mad_u64_u32 v[6:7], s[30:31], v7, v6, 0
	v_lshlrev_b64 v[6:7], 3, v[6:7]
	v_and_b32_e32 v6, -16, v6
	v_lshl_add_u64 v[6:7], v[20:21], 0, v[6:7]
	flat_load_dwordx4 v[30:33], v[6:7]
	v_mov_b32_e32 v6, s40
	ds_read_b128 v[34:37], v6 offset:16
	s_waitcnt vmcnt(0) lgkmcnt(0)
	v_mul_f64 v[6:7], v[32:33], v[36:37]
	v_mul_f64 v[8:9], v[30:31], v[36:37]
	v_fma_f64 v[6:7], v[30:31], v[34:35], -v[6:7]
	v_fmac_f64_e32 v[8:9], v[32:33], v[34:35]
.LBB15_161:                             ;   in Loop: Header=BB15_155 Depth=3
	s_andn2_saveexec_b64 s[28:29], s[28:29]
	s_cbranch_execz .LBB15_154
; %bb.162:                              ;   in Loop: Header=BB15_155 Depth=3
	v_mov_b32_e32 v6, s40
	ds_read_b128 v[6:9], v6 offset:16
	s_branch .LBB15_154
.LBB15_163:                             ;   in Loop: Header=BB15_136 Depth=1
	s_or_b64 exec, exec, s[20:21]
.LBB15_164:                             ;   in Loop: Header=BB15_136 Depth=1
	s_and_saveexec_b64 s[20:21], s[0:1]
	s_cbranch_execz .LBB15_135
; %bb.165:                              ;   in Loop: Header=BB15_136 Depth=1
	v_mad_u64_u32 v[6:7], s[0:1], s6, v16, 0
	ds_read2_b64 v[2:5], v28 offset1:1
	v_mov_b32_e32 v8, v7
	v_mad_u64_u32 v[8:9], s[0:1], s7, v16, v[8:9]
	v_mov_b32_e32 v7, v8
	v_lshl_add_u64 v[6:7], v[6:7], 4, s[4:5]
	s_waitcnt lgkmcnt(0)
	flat_store_dwordx4 v[6:7], v[2:5]
	s_branch .LBB15_135
.LBB15_166:
	s_endpgm
	.section	.rodata,"a",@progbits
	.p2align	6, 0x0
	.amdhsa_kernel _ZL19rocblas_tpsv_kernelILb0ELi512EPKPK19rocblas_complex_numIdEPKPS1_Ev18rocblas_operation_bbiT1_llT2_lll
		.amdhsa_group_segment_fixed_size 16384
		.amdhsa_private_segment_fixed_size 0
		.amdhsa_kernarg_size 72
		.amdhsa_user_sgpr_count 2
		.amdhsa_user_sgpr_dispatch_ptr 0
		.amdhsa_user_sgpr_queue_ptr 0
		.amdhsa_user_sgpr_kernarg_segment_ptr 1
		.amdhsa_user_sgpr_dispatch_id 0
		.amdhsa_user_sgpr_kernarg_preload_length 0
		.amdhsa_user_sgpr_kernarg_preload_offset 0
		.amdhsa_user_sgpr_private_segment_size 0
		.amdhsa_uses_dynamic_stack 0
		.amdhsa_enable_private_segment 0
		.amdhsa_system_sgpr_workgroup_id_x 1
		.amdhsa_system_sgpr_workgroup_id_y 0
		.amdhsa_system_sgpr_workgroup_id_z 0
		.amdhsa_system_sgpr_workgroup_info 0
		.amdhsa_system_vgpr_workitem_id 0
		.amdhsa_next_free_vgpr 44
		.amdhsa_next_free_sgpr 74
		.amdhsa_accum_offset 44
		.amdhsa_reserve_vcc 1
		.amdhsa_float_round_mode_32 0
		.amdhsa_float_round_mode_16_64 0
		.amdhsa_float_denorm_mode_32 3
		.amdhsa_float_denorm_mode_16_64 3
		.amdhsa_dx10_clamp 1
		.amdhsa_ieee_mode 1
		.amdhsa_fp16_overflow 0
		.amdhsa_tg_split 0
		.amdhsa_exception_fp_ieee_invalid_op 0
		.amdhsa_exception_fp_denorm_src 0
		.amdhsa_exception_fp_ieee_div_zero 0
		.amdhsa_exception_fp_ieee_overflow 0
		.amdhsa_exception_fp_ieee_underflow 0
		.amdhsa_exception_fp_ieee_inexact 0
		.amdhsa_exception_int_div_zero 0
	.end_amdhsa_kernel
	.section	.text._ZL19rocblas_tpsv_kernelILb0ELi512EPKPK19rocblas_complex_numIdEPKPS1_Ev18rocblas_operation_bbiT1_llT2_lll,"axG",@progbits,_ZL19rocblas_tpsv_kernelILb0ELi512EPKPK19rocblas_complex_numIdEPKPS1_Ev18rocblas_operation_bbiT1_llT2_lll,comdat
.Lfunc_end15:
	.size	_ZL19rocblas_tpsv_kernelILb0ELi512EPKPK19rocblas_complex_numIdEPKPS1_Ev18rocblas_operation_bbiT1_llT2_lll, .Lfunc_end15-_ZL19rocblas_tpsv_kernelILb0ELi512EPKPK19rocblas_complex_numIdEPKPS1_Ev18rocblas_operation_bbiT1_llT2_lll
                                        ; -- End function
	.set _ZL19rocblas_tpsv_kernelILb0ELi512EPKPK19rocblas_complex_numIdEPKPS1_Ev18rocblas_operation_bbiT1_llT2_lll.num_vgpr, 44
	.set _ZL19rocblas_tpsv_kernelILb0ELi512EPKPK19rocblas_complex_numIdEPKPS1_Ev18rocblas_operation_bbiT1_llT2_lll.num_agpr, 0
	.set _ZL19rocblas_tpsv_kernelILb0ELi512EPKPK19rocblas_complex_numIdEPKPS1_Ev18rocblas_operation_bbiT1_llT2_lll.numbered_sgpr, 74
	.set _ZL19rocblas_tpsv_kernelILb0ELi512EPKPK19rocblas_complex_numIdEPKPS1_Ev18rocblas_operation_bbiT1_llT2_lll.num_named_barrier, 0
	.set _ZL19rocblas_tpsv_kernelILb0ELi512EPKPK19rocblas_complex_numIdEPKPS1_Ev18rocblas_operation_bbiT1_llT2_lll.private_seg_size, 0
	.set _ZL19rocblas_tpsv_kernelILb0ELi512EPKPK19rocblas_complex_numIdEPKPS1_Ev18rocblas_operation_bbiT1_llT2_lll.uses_vcc, 1
	.set _ZL19rocblas_tpsv_kernelILb0ELi512EPKPK19rocblas_complex_numIdEPKPS1_Ev18rocblas_operation_bbiT1_llT2_lll.uses_flat_scratch, 0
	.set _ZL19rocblas_tpsv_kernelILb0ELi512EPKPK19rocblas_complex_numIdEPKPS1_Ev18rocblas_operation_bbiT1_llT2_lll.has_dyn_sized_stack, 0
	.set _ZL19rocblas_tpsv_kernelILb0ELi512EPKPK19rocblas_complex_numIdEPKPS1_Ev18rocblas_operation_bbiT1_llT2_lll.has_recursion, 0
	.set _ZL19rocblas_tpsv_kernelILb0ELi512EPKPK19rocblas_complex_numIdEPKPS1_Ev18rocblas_operation_bbiT1_llT2_lll.has_indirect_call, 0
	.section	.AMDGPU.csdata,"",@progbits
; Kernel info:
; codeLenInByte = 7572
; TotalNumSgprs: 80
; NumVgprs: 44
; NumAgprs: 0
; TotalNumVgprs: 44
; ScratchSize: 0
; MemoryBound: 0
; FloatMode: 240
; IeeeMode: 1
; LDSByteSize: 16384 bytes/workgroup (compile time only)
; SGPRBlocks: 9
; VGPRBlocks: 5
; NumSGPRsForWavesPerEU: 80
; NumVGPRsForWavesPerEU: 44
; AccumOffset: 44
; Occupancy: 8
; WaveLimiterHint : 1
; COMPUTE_PGM_RSRC2:SCRATCH_EN: 0
; COMPUTE_PGM_RSRC2:USER_SGPR: 2
; COMPUTE_PGM_RSRC2:TRAP_HANDLER: 0
; COMPUTE_PGM_RSRC2:TGID_X_EN: 1
; COMPUTE_PGM_RSRC2:TGID_Y_EN: 0
; COMPUTE_PGM_RSRC2:TGID_Z_EN: 0
; COMPUTE_PGM_RSRC2:TIDIG_COMP_CNT: 0
; COMPUTE_PGM_RSRC3_GFX90A:ACCUM_OFFSET: 10
; COMPUTE_PGM_RSRC3_GFX90A:TG_SPLIT: 0
	.section	.AMDGPU.gpr_maximums,"",@progbits
	.set amdgpu.max_num_vgpr, 0
	.set amdgpu.max_num_agpr, 0
	.set amdgpu.max_num_sgpr, 0
	.section	.AMDGPU.csdata,"",@progbits
	.type	__hip_cuid_d30f02efbe79018c,@object ; @__hip_cuid_d30f02efbe79018c
	.section	.bss,"aw",@nobits
	.globl	__hip_cuid_d30f02efbe79018c
__hip_cuid_d30f02efbe79018c:
	.byte	0                               ; 0x0
	.size	__hip_cuid_d30f02efbe79018c, 1

	.ident	"AMD clang version 22.0.0git (https://github.com/RadeonOpenCompute/llvm-project roc-7.2.4 26084 f58b06dce1f9c15707c5f808fd002e18c2accf7e)"
	.section	".note.GNU-stack","",@progbits
	.addrsig
	.addrsig_sym __hip_cuid_d30f02efbe79018c
	.amdgpu_metadata
---
amdhsa.kernels:
  - .agpr_count:     0
    .args:
      - .offset:         0
        .size:           4
        .value_kind:     by_value
      - .offset:         4
        .size:           1
        .value_kind:     by_value
      - .offset:         5
        .size:           1
        .value_kind:     by_value
      - .offset:         8
        .size:           4
        .value_kind:     by_value
      - .actual_access:  read_only
        .address_space:  global
        .offset:         16
        .size:           8
        .value_kind:     global_buffer
      - .offset:         24
        .size:           8
        .value_kind:     by_value
      - .offset:         32
        .size:           8
        .value_kind:     by_value
      - .address_space:  global
        .offset:         40
        .size:           8
        .value_kind:     global_buffer
      - .offset:         48
        .size:           8
        .value_kind:     by_value
      - .offset:         56
        .size:           8
        .value_kind:     by_value
      - .offset:         64
        .size:           8
        .value_kind:     by_value
    .group_segment_fixed_size: 8192
    .kernarg_segment_align: 8
    .kernarg_segment_size: 72
    .language:       OpenCL C
    .language_version:
      - 2
      - 0
    .max_flat_workgroup_size: 512
    .name:           _ZL19rocblas_tpsv_kernelILb1ELi512EPKfPfEv18rocblas_operation_bbiT1_llT2_lll
    .private_segment_fixed_size: 0
    .sgpr_count:     76
    .sgpr_spill_count: 0
    .symbol:         _ZL19rocblas_tpsv_kernelILb1ELi512EPKfPfEv18rocblas_operation_bbiT1_llT2_lll.kd
    .uniform_work_group_size: 1
    .uses_dynamic_stack: false
    .vgpr_count:     26
    .vgpr_spill_count: 0
    .wavefront_size: 64
  - .agpr_count:     0
    .args:
      - .offset:         0
        .size:           4
        .value_kind:     by_value
      - .offset:         4
        .size:           1
        .value_kind:     by_value
      - .offset:         5
        .size:           1
        .value_kind:     by_value
      - .offset:         8
        .size:           4
        .value_kind:     by_value
      - .actual_access:  read_only
        .address_space:  global
        .offset:         16
        .size:           8
        .value_kind:     global_buffer
      - .offset:         24
        .size:           8
        .value_kind:     by_value
      - .offset:         32
        .size:           8
        .value_kind:     by_value
      - .address_space:  global
        .offset:         40
        .size:           8
        .value_kind:     global_buffer
      - .offset:         48
        .size:           8
        .value_kind:     by_value
      - .offset:         56
        .size:           8
        .value_kind:     by_value
      - .offset:         64
        .size:           8
        .value_kind:     by_value
    .group_segment_fixed_size: 4096
    .kernarg_segment_align: 8
    .kernarg_segment_size: 72
    .language:       OpenCL C
    .language_version:
      - 2
      - 0
    .max_flat_workgroup_size: 512
    .name:           _ZL19rocblas_tpsv_kernelILb0ELi512EPKfPfEv18rocblas_operation_bbiT1_llT2_lll
    .private_segment_fixed_size: 0
    .sgpr_count:     76
    .sgpr_spill_count: 0
    .symbol:         _ZL19rocblas_tpsv_kernelILb0ELi512EPKfPfEv18rocblas_operation_bbiT1_llT2_lll.kd
    .uniform_work_group_size: 1
    .uses_dynamic_stack: false
    .vgpr_count:     26
    .vgpr_spill_count: 0
    .wavefront_size: 64
  - .agpr_count:     0
    .args:
      - .offset:         0
        .size:           4
        .value_kind:     by_value
      - .offset:         4
        .size:           1
        .value_kind:     by_value
      - .offset:         5
        .size:           1
        .value_kind:     by_value
      - .offset:         8
        .size:           4
        .value_kind:     by_value
      - .actual_access:  read_only
        .address_space:  global
        .offset:         16
        .size:           8
        .value_kind:     global_buffer
      - .offset:         24
        .size:           8
        .value_kind:     by_value
      - .offset:         32
        .size:           8
        .value_kind:     by_value
      - .address_space:  global
        .offset:         40
        .size:           8
        .value_kind:     global_buffer
      - .offset:         48
        .size:           8
        .value_kind:     by_value
      - .offset:         56
        .size:           8
        .value_kind:     by_value
      - .offset:         64
        .size:           8
        .value_kind:     by_value
    .group_segment_fixed_size: 16384
    .kernarg_segment_align: 8
    .kernarg_segment_size: 72
    .language:       OpenCL C
    .language_version:
      - 2
      - 0
    .max_flat_workgroup_size: 512
    .name:           _ZL19rocblas_tpsv_kernelILb1ELi512EPKdPdEv18rocblas_operation_bbiT1_llT2_lll
    .private_segment_fixed_size: 0
    .sgpr_count:     76
    .sgpr_spill_count: 0
    .symbol:         _ZL19rocblas_tpsv_kernelILb1ELi512EPKdPdEv18rocblas_operation_bbiT1_llT2_lll.kd
    .uniform_work_group_size: 1
    .uses_dynamic_stack: false
    .vgpr_count:     34
    .vgpr_spill_count: 0
    .wavefront_size: 64
  - .agpr_count:     0
    .args:
      - .offset:         0
        .size:           4
        .value_kind:     by_value
      - .offset:         4
        .size:           1
        .value_kind:     by_value
      - .offset:         5
        .size:           1
        .value_kind:     by_value
      - .offset:         8
        .size:           4
        .value_kind:     by_value
      - .actual_access:  read_only
        .address_space:  global
        .offset:         16
        .size:           8
        .value_kind:     global_buffer
      - .offset:         24
        .size:           8
        .value_kind:     by_value
      - .offset:         32
        .size:           8
        .value_kind:     by_value
      - .address_space:  global
        .offset:         40
        .size:           8
        .value_kind:     global_buffer
      - .offset:         48
        .size:           8
        .value_kind:     by_value
      - .offset:         56
        .size:           8
        .value_kind:     by_value
      - .offset:         64
        .size:           8
        .value_kind:     by_value
    .group_segment_fixed_size: 8192
    .kernarg_segment_align: 8
    .kernarg_segment_size: 72
    .language:       OpenCL C
    .language_version:
      - 2
      - 0
    .max_flat_workgroup_size: 512
    .name:           _ZL19rocblas_tpsv_kernelILb0ELi512EPKdPdEv18rocblas_operation_bbiT1_llT2_lll
    .private_segment_fixed_size: 0
    .sgpr_count:     76
    .sgpr_spill_count: 0
    .symbol:         _ZL19rocblas_tpsv_kernelILb0ELi512EPKdPdEv18rocblas_operation_bbiT1_llT2_lll.kd
    .uniform_work_group_size: 1
    .uses_dynamic_stack: false
    .vgpr_count:     34
    .vgpr_spill_count: 0
    .wavefront_size: 64
  - .agpr_count:     0
    .args:
      - .offset:         0
        .size:           4
        .value_kind:     by_value
      - .offset:         4
        .size:           1
        .value_kind:     by_value
      - .offset:         5
        .size:           1
        .value_kind:     by_value
      - .offset:         8
        .size:           4
        .value_kind:     by_value
      - .actual_access:  read_only
        .address_space:  global
        .offset:         16
        .size:           8
        .value_kind:     global_buffer
      - .offset:         24
        .size:           8
        .value_kind:     by_value
      - .offset:         32
        .size:           8
        .value_kind:     by_value
      - .address_space:  global
        .offset:         40
        .size:           8
        .value_kind:     global_buffer
      - .offset:         48
        .size:           8
        .value_kind:     by_value
      - .offset:         56
        .size:           8
        .value_kind:     by_value
      - .offset:         64
        .size:           8
        .value_kind:     by_value
    .group_segment_fixed_size: 16384
    .kernarg_segment_align: 8
    .kernarg_segment_size: 72
    .language:       OpenCL C
    .language_version:
      - 2
      - 0
    .max_flat_workgroup_size: 512
    .name:           _ZL19rocblas_tpsv_kernelILb1ELi512EPK19rocblas_complex_numIfEPS1_Ev18rocblas_operation_bbiT1_llT2_lll
    .private_segment_fixed_size: 0
    .sgpr_count:     78
    .sgpr_spill_count: 0
    .symbol:         _ZL19rocblas_tpsv_kernelILb1ELi512EPK19rocblas_complex_numIfEPS1_Ev18rocblas_operation_bbiT1_llT2_lll.kd
    .uniform_work_group_size: 1
    .uses_dynamic_stack: false
    .vgpr_count:     34
    .vgpr_spill_count: 0
    .wavefront_size: 64
  - .agpr_count:     0
    .args:
      - .offset:         0
        .size:           4
        .value_kind:     by_value
      - .offset:         4
        .size:           1
        .value_kind:     by_value
      - .offset:         5
        .size:           1
        .value_kind:     by_value
      - .offset:         8
        .size:           4
        .value_kind:     by_value
      - .actual_access:  read_only
        .address_space:  global
        .offset:         16
        .size:           8
        .value_kind:     global_buffer
      - .offset:         24
        .size:           8
        .value_kind:     by_value
      - .offset:         32
        .size:           8
        .value_kind:     by_value
      - .address_space:  global
        .offset:         40
        .size:           8
        .value_kind:     global_buffer
      - .offset:         48
        .size:           8
        .value_kind:     by_value
      - .offset:         56
        .size:           8
        .value_kind:     by_value
      - .offset:         64
        .size:           8
        .value_kind:     by_value
    .group_segment_fixed_size: 8192
    .kernarg_segment_align: 8
    .kernarg_segment_size: 72
    .language:       OpenCL C
    .language_version:
      - 2
      - 0
    .max_flat_workgroup_size: 512
    .name:           _ZL19rocblas_tpsv_kernelILb0ELi512EPK19rocblas_complex_numIfEPS1_Ev18rocblas_operation_bbiT1_llT2_lll
    .private_segment_fixed_size: 0
    .sgpr_count:     78
    .sgpr_spill_count: 0
    .symbol:         _ZL19rocblas_tpsv_kernelILb0ELi512EPK19rocblas_complex_numIfEPS1_Ev18rocblas_operation_bbiT1_llT2_lll.kd
    .uniform_work_group_size: 1
    .uses_dynamic_stack: false
    .vgpr_count:     32
    .vgpr_spill_count: 0
    .wavefront_size: 64
  - .agpr_count:     0
    .args:
      - .offset:         0
        .size:           4
        .value_kind:     by_value
      - .offset:         4
        .size:           1
        .value_kind:     by_value
      - .offset:         5
        .size:           1
        .value_kind:     by_value
      - .offset:         8
        .size:           4
        .value_kind:     by_value
      - .actual_access:  read_only
        .address_space:  global
        .offset:         16
        .size:           8
        .value_kind:     global_buffer
      - .offset:         24
        .size:           8
        .value_kind:     by_value
      - .offset:         32
        .size:           8
        .value_kind:     by_value
      - .address_space:  global
        .offset:         40
        .size:           8
        .value_kind:     global_buffer
      - .offset:         48
        .size:           8
        .value_kind:     by_value
      - .offset:         56
        .size:           8
        .value_kind:     by_value
      - .offset:         64
        .size:           8
        .value_kind:     by_value
    .group_segment_fixed_size: 32768
    .kernarg_segment_align: 8
    .kernarg_segment_size: 72
    .language:       OpenCL C
    .language_version:
      - 2
      - 0
    .max_flat_workgroup_size: 512
    .name:           _ZL19rocblas_tpsv_kernelILb1ELi512EPK19rocblas_complex_numIdEPS1_Ev18rocblas_operation_bbiT1_llT2_lll
    .private_segment_fixed_size: 0
    .sgpr_count:     80
    .sgpr_spill_count: 0
    .symbol:         _ZL19rocblas_tpsv_kernelILb1ELi512EPK19rocblas_complex_numIdEPS1_Ev18rocblas_operation_bbiT1_llT2_lll.kd
    .uniform_work_group_size: 1
    .uses_dynamic_stack: false
    .vgpr_count:     46
    .vgpr_spill_count: 0
    .wavefront_size: 64
  - .agpr_count:     0
    .args:
      - .offset:         0
        .size:           4
        .value_kind:     by_value
      - .offset:         4
        .size:           1
        .value_kind:     by_value
      - .offset:         5
        .size:           1
        .value_kind:     by_value
      - .offset:         8
        .size:           4
        .value_kind:     by_value
      - .actual_access:  read_only
        .address_space:  global
        .offset:         16
        .size:           8
        .value_kind:     global_buffer
      - .offset:         24
        .size:           8
        .value_kind:     by_value
      - .offset:         32
        .size:           8
        .value_kind:     by_value
      - .address_space:  global
        .offset:         40
        .size:           8
        .value_kind:     global_buffer
      - .offset:         48
        .size:           8
        .value_kind:     by_value
      - .offset:         56
        .size:           8
        .value_kind:     by_value
      - .offset:         64
        .size:           8
        .value_kind:     by_value
    .group_segment_fixed_size: 16384
    .kernarg_segment_align: 8
    .kernarg_segment_size: 72
    .language:       OpenCL C
    .language_version:
      - 2
      - 0
    .max_flat_workgroup_size: 512
    .name:           _ZL19rocblas_tpsv_kernelILb0ELi512EPK19rocblas_complex_numIdEPS1_Ev18rocblas_operation_bbiT1_llT2_lll
    .private_segment_fixed_size: 0
    .sgpr_count:     80
    .sgpr_spill_count: 0
    .symbol:         _ZL19rocblas_tpsv_kernelILb0ELi512EPK19rocblas_complex_numIdEPS1_Ev18rocblas_operation_bbiT1_llT2_lll.kd
    .uniform_work_group_size: 1
    .uses_dynamic_stack: false
    .vgpr_count:     44
    .vgpr_spill_count: 0
    .wavefront_size: 64
  - .agpr_count:     0
    .args:
      - .offset:         0
        .size:           4
        .value_kind:     by_value
      - .offset:         4
        .size:           1
        .value_kind:     by_value
      - .offset:         5
        .size:           1
        .value_kind:     by_value
      - .offset:         8
        .size:           4
        .value_kind:     by_value
      - .actual_access:  read_only
        .address_space:  global
        .offset:         16
        .size:           8
        .value_kind:     global_buffer
      - .offset:         24
        .size:           8
        .value_kind:     by_value
      - .offset:         32
        .size:           8
        .value_kind:     by_value
      - .actual_access:  read_only
        .address_space:  global
        .offset:         40
        .size:           8
        .value_kind:     global_buffer
      - .offset:         48
        .size:           8
        .value_kind:     by_value
      - .offset:         56
        .size:           8
        .value_kind:     by_value
      - .offset:         64
        .size:           8
        .value_kind:     by_value
    .group_segment_fixed_size: 8192
    .kernarg_segment_align: 8
    .kernarg_segment_size: 72
    .language:       OpenCL C
    .language_version:
      - 2
      - 0
    .max_flat_workgroup_size: 512
    .name:           _ZL19rocblas_tpsv_kernelILb1ELi512EPKPKfPKPfEv18rocblas_operation_bbiT1_llT2_lll
    .private_segment_fixed_size: 0
    .sgpr_count:     76
    .sgpr_spill_count: 0
    .symbol:         _ZL19rocblas_tpsv_kernelILb1ELi512EPKPKfPKPfEv18rocblas_operation_bbiT1_llT2_lll.kd
    .uniform_work_group_size: 1
    .uses_dynamic_stack: false
    .vgpr_count:     26
    .vgpr_spill_count: 0
    .wavefront_size: 64
  - .agpr_count:     0
    .args:
      - .offset:         0
        .size:           4
        .value_kind:     by_value
      - .offset:         4
        .size:           1
        .value_kind:     by_value
      - .offset:         5
        .size:           1
        .value_kind:     by_value
      - .offset:         8
        .size:           4
        .value_kind:     by_value
      - .actual_access:  read_only
        .address_space:  global
        .offset:         16
        .size:           8
        .value_kind:     global_buffer
      - .offset:         24
        .size:           8
        .value_kind:     by_value
      - .offset:         32
        .size:           8
        .value_kind:     by_value
      - .actual_access:  read_only
        .address_space:  global
        .offset:         40
        .size:           8
        .value_kind:     global_buffer
      - .offset:         48
        .size:           8
        .value_kind:     by_value
      - .offset:         56
        .size:           8
        .value_kind:     by_value
      - .offset:         64
        .size:           8
        .value_kind:     by_value
    .group_segment_fixed_size: 4096
    .kernarg_segment_align: 8
    .kernarg_segment_size: 72
    .language:       OpenCL C
    .language_version:
      - 2
      - 0
    .max_flat_workgroup_size: 512
    .name:           _ZL19rocblas_tpsv_kernelILb0ELi512EPKPKfPKPfEv18rocblas_operation_bbiT1_llT2_lll
    .private_segment_fixed_size: 0
    .sgpr_count:     76
    .sgpr_spill_count: 0
    .symbol:         _ZL19rocblas_tpsv_kernelILb0ELi512EPKPKfPKPfEv18rocblas_operation_bbiT1_llT2_lll.kd
    .uniform_work_group_size: 1
    .uses_dynamic_stack: false
    .vgpr_count:     26
    .vgpr_spill_count: 0
    .wavefront_size: 64
  - .agpr_count:     0
    .args:
      - .offset:         0
        .size:           4
        .value_kind:     by_value
      - .offset:         4
        .size:           1
        .value_kind:     by_value
      - .offset:         5
        .size:           1
        .value_kind:     by_value
      - .offset:         8
        .size:           4
        .value_kind:     by_value
      - .actual_access:  read_only
        .address_space:  global
        .offset:         16
        .size:           8
        .value_kind:     global_buffer
      - .offset:         24
        .size:           8
        .value_kind:     by_value
      - .offset:         32
        .size:           8
        .value_kind:     by_value
      - .actual_access:  read_only
        .address_space:  global
        .offset:         40
        .size:           8
        .value_kind:     global_buffer
      - .offset:         48
        .size:           8
        .value_kind:     by_value
      - .offset:         56
        .size:           8
        .value_kind:     by_value
      - .offset:         64
        .size:           8
        .value_kind:     by_value
    .group_segment_fixed_size: 16384
    .kernarg_segment_align: 8
    .kernarg_segment_size: 72
    .language:       OpenCL C
    .language_version:
      - 2
      - 0
    .max_flat_workgroup_size: 512
    .name:           _ZL19rocblas_tpsv_kernelILb1ELi512EPKPKdPKPdEv18rocblas_operation_bbiT1_llT2_lll
    .private_segment_fixed_size: 0
    .sgpr_count:     76
    .sgpr_spill_count: 0
    .symbol:         _ZL19rocblas_tpsv_kernelILb1ELi512EPKPKdPKPdEv18rocblas_operation_bbiT1_llT2_lll.kd
    .uniform_work_group_size: 1
    .uses_dynamic_stack: false
    .vgpr_count:     34
    .vgpr_spill_count: 0
    .wavefront_size: 64
  - .agpr_count:     0
    .args:
      - .offset:         0
        .size:           4
        .value_kind:     by_value
      - .offset:         4
        .size:           1
        .value_kind:     by_value
      - .offset:         5
        .size:           1
        .value_kind:     by_value
      - .offset:         8
        .size:           4
        .value_kind:     by_value
      - .actual_access:  read_only
        .address_space:  global
        .offset:         16
        .size:           8
        .value_kind:     global_buffer
      - .offset:         24
        .size:           8
        .value_kind:     by_value
      - .offset:         32
        .size:           8
        .value_kind:     by_value
      - .actual_access:  read_only
        .address_space:  global
        .offset:         40
        .size:           8
        .value_kind:     global_buffer
      - .offset:         48
        .size:           8
        .value_kind:     by_value
      - .offset:         56
        .size:           8
        .value_kind:     by_value
      - .offset:         64
        .size:           8
        .value_kind:     by_value
    .group_segment_fixed_size: 8192
    .kernarg_segment_align: 8
    .kernarg_segment_size: 72
    .language:       OpenCL C
    .language_version:
      - 2
      - 0
    .max_flat_workgroup_size: 512
    .name:           _ZL19rocblas_tpsv_kernelILb0ELi512EPKPKdPKPdEv18rocblas_operation_bbiT1_llT2_lll
    .private_segment_fixed_size: 0
    .sgpr_count:     76
    .sgpr_spill_count: 0
    .symbol:         _ZL19rocblas_tpsv_kernelILb0ELi512EPKPKdPKPdEv18rocblas_operation_bbiT1_llT2_lll.kd
    .uniform_work_group_size: 1
    .uses_dynamic_stack: false
    .vgpr_count:     34
    .vgpr_spill_count: 0
    .wavefront_size: 64
  - .agpr_count:     0
    .args:
      - .offset:         0
        .size:           4
        .value_kind:     by_value
      - .offset:         4
        .size:           1
        .value_kind:     by_value
      - .offset:         5
        .size:           1
        .value_kind:     by_value
      - .offset:         8
        .size:           4
        .value_kind:     by_value
      - .actual_access:  read_only
        .address_space:  global
        .offset:         16
        .size:           8
        .value_kind:     global_buffer
      - .offset:         24
        .size:           8
        .value_kind:     by_value
      - .offset:         32
        .size:           8
        .value_kind:     by_value
      - .actual_access:  read_only
        .address_space:  global
        .offset:         40
        .size:           8
        .value_kind:     global_buffer
      - .offset:         48
        .size:           8
        .value_kind:     by_value
      - .offset:         56
        .size:           8
        .value_kind:     by_value
      - .offset:         64
        .size:           8
        .value_kind:     by_value
    .group_segment_fixed_size: 16384
    .kernarg_segment_align: 8
    .kernarg_segment_size: 72
    .language:       OpenCL C
    .language_version:
      - 2
      - 0
    .max_flat_workgroup_size: 512
    .name:           _ZL19rocblas_tpsv_kernelILb1ELi512EPKPK19rocblas_complex_numIfEPKPS1_Ev18rocblas_operation_bbiT1_llT2_lll
    .private_segment_fixed_size: 0
    .sgpr_count:     78
    .sgpr_spill_count: 0
    .symbol:         _ZL19rocblas_tpsv_kernelILb1ELi512EPKPK19rocblas_complex_numIfEPKPS1_Ev18rocblas_operation_bbiT1_llT2_lll.kd
    .uniform_work_group_size: 1
    .uses_dynamic_stack: false
    .vgpr_count:     34
    .vgpr_spill_count: 0
    .wavefront_size: 64
  - .agpr_count:     0
    .args:
      - .offset:         0
        .size:           4
        .value_kind:     by_value
      - .offset:         4
        .size:           1
        .value_kind:     by_value
      - .offset:         5
        .size:           1
        .value_kind:     by_value
      - .offset:         8
        .size:           4
        .value_kind:     by_value
      - .actual_access:  read_only
        .address_space:  global
        .offset:         16
        .size:           8
        .value_kind:     global_buffer
      - .offset:         24
        .size:           8
        .value_kind:     by_value
      - .offset:         32
        .size:           8
        .value_kind:     by_value
      - .actual_access:  read_only
        .address_space:  global
        .offset:         40
        .size:           8
        .value_kind:     global_buffer
      - .offset:         48
        .size:           8
        .value_kind:     by_value
      - .offset:         56
        .size:           8
        .value_kind:     by_value
      - .offset:         64
        .size:           8
        .value_kind:     by_value
    .group_segment_fixed_size: 8192
    .kernarg_segment_align: 8
    .kernarg_segment_size: 72
    .language:       OpenCL C
    .language_version:
      - 2
      - 0
    .max_flat_workgroup_size: 512
    .name:           _ZL19rocblas_tpsv_kernelILb0ELi512EPKPK19rocblas_complex_numIfEPKPS1_Ev18rocblas_operation_bbiT1_llT2_lll
    .private_segment_fixed_size: 0
    .sgpr_count:     78
    .sgpr_spill_count: 0
    .symbol:         _ZL19rocblas_tpsv_kernelILb0ELi512EPKPK19rocblas_complex_numIfEPKPS1_Ev18rocblas_operation_bbiT1_llT2_lll.kd
    .uniform_work_group_size: 1
    .uses_dynamic_stack: false
    .vgpr_count:     32
    .vgpr_spill_count: 0
    .wavefront_size: 64
  - .agpr_count:     0
    .args:
      - .offset:         0
        .size:           4
        .value_kind:     by_value
      - .offset:         4
        .size:           1
        .value_kind:     by_value
      - .offset:         5
        .size:           1
        .value_kind:     by_value
      - .offset:         8
        .size:           4
        .value_kind:     by_value
      - .actual_access:  read_only
        .address_space:  global
        .offset:         16
        .size:           8
        .value_kind:     global_buffer
      - .offset:         24
        .size:           8
        .value_kind:     by_value
      - .offset:         32
        .size:           8
        .value_kind:     by_value
      - .actual_access:  read_only
        .address_space:  global
        .offset:         40
        .size:           8
        .value_kind:     global_buffer
      - .offset:         48
        .size:           8
        .value_kind:     by_value
      - .offset:         56
        .size:           8
        .value_kind:     by_value
      - .offset:         64
        .size:           8
        .value_kind:     by_value
    .group_segment_fixed_size: 32768
    .kernarg_segment_align: 8
    .kernarg_segment_size: 72
    .language:       OpenCL C
    .language_version:
      - 2
      - 0
    .max_flat_workgroup_size: 512
    .name:           _ZL19rocblas_tpsv_kernelILb1ELi512EPKPK19rocblas_complex_numIdEPKPS1_Ev18rocblas_operation_bbiT1_llT2_lll
    .private_segment_fixed_size: 0
    .sgpr_count:     80
    .sgpr_spill_count: 0
    .symbol:         _ZL19rocblas_tpsv_kernelILb1ELi512EPKPK19rocblas_complex_numIdEPKPS1_Ev18rocblas_operation_bbiT1_llT2_lll.kd
    .uniform_work_group_size: 1
    .uses_dynamic_stack: false
    .vgpr_count:     46
    .vgpr_spill_count: 0
    .wavefront_size: 64
  - .agpr_count:     0
    .args:
      - .offset:         0
        .size:           4
        .value_kind:     by_value
      - .offset:         4
        .size:           1
        .value_kind:     by_value
      - .offset:         5
        .size:           1
        .value_kind:     by_value
      - .offset:         8
        .size:           4
        .value_kind:     by_value
      - .actual_access:  read_only
        .address_space:  global
        .offset:         16
        .size:           8
        .value_kind:     global_buffer
      - .offset:         24
        .size:           8
        .value_kind:     by_value
      - .offset:         32
        .size:           8
        .value_kind:     by_value
      - .actual_access:  read_only
        .address_space:  global
        .offset:         40
        .size:           8
        .value_kind:     global_buffer
      - .offset:         48
        .size:           8
        .value_kind:     by_value
      - .offset:         56
        .size:           8
        .value_kind:     by_value
      - .offset:         64
        .size:           8
        .value_kind:     by_value
    .group_segment_fixed_size: 16384
    .kernarg_segment_align: 8
    .kernarg_segment_size: 72
    .language:       OpenCL C
    .language_version:
      - 2
      - 0
    .max_flat_workgroup_size: 512
    .name:           _ZL19rocblas_tpsv_kernelILb0ELi512EPKPK19rocblas_complex_numIdEPKPS1_Ev18rocblas_operation_bbiT1_llT2_lll
    .private_segment_fixed_size: 0
    .sgpr_count:     80
    .sgpr_spill_count: 0
    .symbol:         _ZL19rocblas_tpsv_kernelILb0ELi512EPKPK19rocblas_complex_numIdEPKPS1_Ev18rocblas_operation_bbiT1_llT2_lll.kd
    .uniform_work_group_size: 1
    .uses_dynamic_stack: false
    .vgpr_count:     44
    .vgpr_spill_count: 0
    .wavefront_size: 64
amdhsa.target:   amdgcn-amd-amdhsa--gfx950
amdhsa.version:
  - 1
  - 2
...

	.end_amdgpu_metadata
